;; amdgpu-corpus repo=ROCm/rocFFT kind=compiled arch=gfx906 opt=O3
	.text
	.amdgcn_target "amdgcn-amd-amdhsa--gfx906"
	.amdhsa_code_object_version 6
	.protected	bluestein_single_back_len2500_dim1_sp_op_CI_CI ; -- Begin function bluestein_single_back_len2500_dim1_sp_op_CI_CI
	.globl	bluestein_single_back_len2500_dim1_sp_op_CI_CI
	.p2align	8
	.type	bluestein_single_back_len2500_dim1_sp_op_CI_CI,@function
bluestein_single_back_len2500_dim1_sp_op_CI_CI: ; @bluestein_single_back_len2500_dim1_sp_op_CI_CI
; %bb.0:
	s_load_dwordx4 s[12:15], s[4:5], 0x28
	v_mul_u32_u24_e32 v1, 0x107, v0
	v_add_u32_sdwa v50, s6, v1 dst_sel:DWORD dst_unused:UNUSED_PAD src0_sel:DWORD src1_sel:WORD_1
	v_mov_b32_e32 v51, 0
	s_waitcnt lgkmcnt(0)
	v_cmp_gt_u64_e32 vcc, s[12:13], v[50:51]
	s_and_saveexec_b64 s[0:1], vcc
	s_cbranch_execz .LBB0_2
; %bb.1:
	s_load_dwordx4 s[0:3], s[4:5], 0x18
	s_load_dwordx4 s[8:11], s[4:5], 0x0
	s_movk_i32 s6, 0xfa
	v_mul_lo_u16_sdwa v1, v1, s6 dst_sel:DWORD dst_unused:UNUSED_PAD src0_sel:WORD_1 src1_sel:DWORD
	v_sub_u16_e32 v73, v0, v1
	s_waitcnt lgkmcnt(0)
	s_load_dwordx4 s[16:19], s[0:1], 0x0
	v_lshlrev_b32_e32 v75, 3, v73
	s_movk_i32 s7, 0x1000
	v_add_u32_e32 v78, 0xf80, v75
	v_add_u32_e32 v77, 0x1f40, v75
	s_waitcnt lgkmcnt(0)
	v_mad_u64_u32 v[0:1], s[0:1], s18, v50, 0
	v_mad_u64_u32 v[2:3], s[0:1], s16, v73, 0
	v_add_u32_e32 v76, 0x2ec0, v75
	v_add_u32_e32 v74, 0x3e80, v75
	v_mad_u64_u32 v[4:5], s[0:1], s19, v50, v[1:2]
	v_mad_u64_u32 v[5:6], s[0:1], s17, v73, v[3:4]
	v_mov_b32_e32 v1, v4
	v_lshlrev_b64 v[0:1], 3, v[0:1]
	v_mov_b32_e32 v6, s15
	v_mov_b32_e32 v3, v5
	v_add_co_u32_e32 v4, vcc, s14, v0
	v_addc_co_u32_e32 v5, vcc, v6, v1, vcc
	v_lshlrev_b64 v[0:1], 3, v[2:3]
	s_mul_i32 s0, s17, 0x7d0
	v_add_co_u32_e32 v0, vcc, v4, v0
	v_addc_co_u32_e32 v1, vcc, v5, v1, vcc
	v_mov_b32_e32 v4, s9
	v_add_co_u32_e32 v79, vcc, s8, v75
	s_mul_hi_u32 s1, s16, 0x7d0
	v_addc_co_u32_e32 v80, vcc, 0, v4, vcc
	s_add_i32 s0, s1, s0
	s_mul_i32 s1, s16, 0x7d0
	global_load_dwordx2 v[2:3], v[0:1], off
	v_mov_b32_e32 v4, s0
	v_add_co_u32_e32 v0, vcc, s1, v0
	v_addc_co_u32_e32 v1, vcc, v1, v4, vcc
	v_mov_b32_e32 v5, s0
	v_add_co_u32_e32 v4, vcc, s1, v0
	v_addc_co_u32_e32 v5, vcc, v1, v5, vcc
	v_mov_b32_e32 v7, s0
	v_add_co_u32_e32 v6, vcc, s1, v4
	v_addc_co_u32_e32 v7, vcc, v5, v7, vcc
	global_load_dwordx2 v[67:68], v75, s[8:9]
	global_load_dwordx2 v[65:66], v75, s[8:9] offset:2000
	global_load_dwordx2 v[59:60], v75, s[8:9] offset:4000
	global_load_dwordx2 v[8:9], v[0:1], off
	global_load_dwordx2 v[10:11], v[4:5], off
	;; [unrolled: 1-line block ×3, first 2 shown]
	v_add_co_u32_e32 v0, vcc, s7, v79
	v_addc_co_u32_e32 v1, vcc, 0, v80, vcc
	v_mov_b32_e32 v5, s0
	v_add_co_u32_e32 v4, vcc, s1, v6
	v_addc_co_u32_e32 v5, vcc, v7, v5, vcc
	global_load_dwordx2 v[6:7], v[4:5], off
	global_load_dwordx2 v[63:64], v[0:1], off offset:1904
	global_load_dwordx2 v[55:56], v[0:1], off offset:3904
	v_mov_b32_e32 v1, s0
	v_add_co_u32_e32 v0, vcc, s1, v4
	v_addc_co_u32_e32 v1, vcc, v5, v1, vcc
	s_movk_i32 s7, 0x2000
	v_add_co_u32_e32 v14, vcc, s7, v79
	v_addc_co_u32_e32 v15, vcc, 0, v80, vcc
	global_load_dwordx2 v[4:5], v[0:1], off
	v_mov_b32_e32 v16, s0
	v_add_co_u32_e32 v0, vcc, s1, v0
	v_addc_co_u32_e32 v1, vcc, v1, v16, vcc
	global_load_dwordx2 v[16:17], v[0:1], off
	global_load_dwordx2 v[61:62], v[14:15], off offset:1808
	global_load_dwordx2 v[53:54], v[14:15], off offset:3808
	v_mov_b32_e32 v14, s0
	v_add_co_u32_e32 v0, vcc, s1, v0
	v_addc_co_u32_e32 v1, vcc, v1, v14, vcc
	s_movk_i32 s7, 0x3000
	v_add_co_u32_e32 v18, vcc, s7, v79
	v_addc_co_u32_e32 v19, vcc, 0, v80, vcc
	global_load_dwordx2 v[14:15], v[0:1], off
	;; [unrolled: 13-line block ×3, first 2 shown]
	s_load_dwordx4 s[0:3], s[2:3], 0x0
	global_load_dwordx2 v[48:49], v[71:72], off offset:1616
	v_add_co_u32_e32 v36, vcc, s6, v73
	s_movk_i32 s6, 0xcd
	s_waitcnt vmcnt(18)
	v_mul_f32_e32 v18, v3, v68
	v_fmac_f32_e32 v18, v2, v67
	v_mul_f32_e32 v2, v2, v68
	v_fma_f32 v19, v3, v67, -v2
	s_waitcnt vmcnt(15)
	v_mul_f32_e32 v2, v9, v66
	v_mul_f32_e32 v3, v8, v66
	v_fmac_f32_e32 v2, v8, v65
	v_fma_f32 v3, v9, v65, -v3
	ds_write2_b64 v75, v[18:19], v[2:3] offset1:250
	s_waitcnt vmcnt(14)
	v_mul_f32_e32 v2, v11, v60
	v_mul_f32_e32 v3, v10, v60
	v_fmac_f32_e32 v2, v10, v59
	s_waitcnt vmcnt(11)
	v_mul_f32_e32 v8, v13, v64
	v_mul_f32_e32 v9, v12, v64
	v_fma_f32 v3, v11, v59, -v3
	v_fmac_f32_e32 v8, v12, v63
	v_fma_f32 v9, v13, v63, -v9
	ds_write2_b64 v78, v[2:3], v[8:9] offset0:4 offset1:254
	s_waitcnt vmcnt(10)
	v_mul_f32_e32 v2, v7, v56
	v_fmac_f32_e32 v2, v6, v55
	v_mul_f32_e32 v3, v6, v56
	v_fma_f32 v3, v7, v55, -v3
	s_waitcnt vmcnt(7)
	v_mul_f32_e32 v6, v5, v62
	v_fmac_f32_e32 v6, v4, v61
	v_mul_f32_e32 v4, v4, v62
	v_fma_f32 v7, v5, v61, -v4
	ds_write2_b64 v77, v[2:3], v[6:7] offset1:250
	s_waitcnt vmcnt(6)
	v_mul_f32_e32 v2, v17, v54
	v_mul_f32_e32 v3, v16, v54
	v_fmac_f32_e32 v2, v16, v53
	v_fma_f32 v3, v17, v53, -v3
	s_waitcnt vmcnt(3)
	v_mul_f32_e32 v4, v15, v58
	v_mul_f32_e32 v5, v14, v58
	v_fmac_f32_e32 v4, v14, v57
	v_fma_f32 v5, v15, v57, -v5
	ds_write2_b64 v76, v[2:3], v[4:5] offset0:4 offset1:254
	s_waitcnt vmcnt(2)
	v_mul_f32_e32 v2, v21, v52
	v_mul_f32_e32 v3, v20, v52
	v_fmac_f32_e32 v2, v20, v51
	v_fma_f32 v3, v21, v51, -v3
	s_waitcnt vmcnt(0)
	v_mul_f32_e32 v4, v1, v49
	v_fmac_f32_e32 v4, v0, v48
	v_mul_f32_e32 v0, v0, v49
	v_fma_f32 v5, v1, v48, -v0
	ds_write2_b64 v74, v[2:3], v[4:5] offset1:250
	s_waitcnt lgkmcnt(0)
	s_barrier
	ds_read2_b64 v[0:3], v75 offset1:250
	ds_read2_b64 v[4:7], v78 offset0:4 offset1:254
	ds_read2_b64 v[8:11], v77 offset1:250
	ds_read2_b64 v[12:15], v76 offset0:4 offset1:254
	ds_read2_b64 v[16:19], v74 offset1:250
	s_waitcnt lgkmcnt(0)
	v_add_f32_e32 v20, v0, v4
	v_sub_f32_e32 v25, v4, v8
	v_add_f32_e32 v21, v8, v12
	v_fma_f32 v21, -0.5, v21, v0
	v_sub_f32_e32 v22, v5, v17
	v_mov_b32_e32 v23, v21
	v_fmac_f32_e32 v23, 0x3f737871, v22
	v_sub_f32_e32 v24, v9, v13
	v_sub_f32_e32 v26, v16, v12
	v_fmac_f32_e32 v21, 0xbf737871, v22
	v_fmac_f32_e32 v23, 0x3f167918, v24
	v_add_f32_e32 v25, v25, v26
	v_fmac_f32_e32 v21, 0xbf167918, v24
	v_fmac_f32_e32 v23, 0x3e9e377a, v25
	;; [unrolled: 1-line block ×3, first 2 shown]
	v_add_f32_e32 v25, v4, v16
	v_fma_f32 v25, -0.5, v25, v0
	v_mov_b32_e32 v26, v25
	v_fmac_f32_e32 v26, 0xbf737871, v24
	v_sub_f32_e32 v0, v8, v4
	v_sub_f32_e32 v27, v12, v16
	v_fmac_f32_e32 v25, 0x3f737871, v24
	v_fmac_f32_e32 v26, 0x3f167918, v22
	v_add_f32_e32 v0, v0, v27
	v_fmac_f32_e32 v25, 0xbf167918, v22
	v_fmac_f32_e32 v26, 0x3e9e377a, v0
	;; [unrolled: 1-line block ×3, first 2 shown]
	v_add_f32_e32 v0, v1, v5
	v_add_f32_e32 v0, v0, v9
	;; [unrolled: 1-line block ×5, first 2 shown]
	v_fma_f32 v24, -0.5, v0, v1
	v_add_f32_e32 v20, v20, v8
	v_sub_f32_e32 v0, v4, v16
	v_mov_b32_e32 v27, v24
	v_add_f32_e32 v20, v20, v12
	v_fmac_f32_e32 v27, 0xbf737871, v0
	v_sub_f32_e32 v4, v8, v12
	v_sub_f32_e32 v8, v5, v9
	;; [unrolled: 1-line block ×3, first 2 shown]
	v_fmac_f32_e32 v24, 0x3f737871, v0
	v_fmac_f32_e32 v27, 0xbf167918, v4
	v_add_f32_e32 v8, v8, v12
	v_fmac_f32_e32 v24, 0x3f167918, v4
	v_fmac_f32_e32 v27, 0x3e9e377a, v8
	;; [unrolled: 1-line block ×3, first 2 shown]
	v_add_f32_e32 v8, v5, v17
	v_fma_f32 v28, -0.5, v8, v1
	v_mov_b32_e32 v29, v28
	v_fmac_f32_e32 v29, 0x3f737871, v4
	v_fmac_f32_e32 v28, 0xbf737871, v4
	;; [unrolled: 1-line block ×4, first 2 shown]
	v_add_f32_e32 v0, v2, v6
	v_add_f32_e32 v0, v0, v10
	;; [unrolled: 1-line block ×3, first 2 shown]
	v_sub_f32_e32 v1, v9, v5
	v_sub_f32_e32 v5, v13, v17
	v_add_f32_e32 v12, v0, v18
	v_add_f32_e32 v0, v10, v14
	;; [unrolled: 1-line block ×3, first 2 shown]
	v_fma_f32 v9, -0.5, v0, v2
	v_fmac_f32_e32 v29, 0x3e9e377a, v1
	v_fmac_f32_e32 v28, 0x3e9e377a, v1
	v_sub_f32_e32 v0, v7, v19
	v_mov_b32_e32 v1, v9
	v_fmac_f32_e32 v1, 0x3f737871, v0
	v_sub_f32_e32 v4, v11, v15
	v_sub_f32_e32 v5, v6, v10
	;; [unrolled: 1-line block ×3, first 2 shown]
	v_fmac_f32_e32 v9, 0xbf737871, v0
	v_fmac_f32_e32 v1, 0x3f167918, v4
	v_add_f32_e32 v5, v5, v8
	v_fmac_f32_e32 v9, 0xbf167918, v4
	v_fmac_f32_e32 v1, 0x3e9e377a, v5
	;; [unrolled: 1-line block ×3, first 2 shown]
	v_add_f32_e32 v5, v6, v18
	v_fma_f32 v13, -0.5, v5, v2
	v_add_f32_e32 v20, v20, v16
	v_mov_b32_e32 v16, v13
	v_fmac_f32_e32 v16, 0xbf737871, v4
	v_fmac_f32_e32 v13, 0x3f737871, v4
	v_fmac_f32_e32 v16, 0x3f167918, v0
	v_fmac_f32_e32 v13, 0xbf167918, v0
	v_add_f32_e32 v0, v3, v7
	v_add_f32_e32 v0, v0, v11
	;; [unrolled: 1-line block ×5, first 2 shown]
	v_sub_f32_e32 v2, v10, v6
	v_sub_f32_e32 v5, v14, v18
	v_fma_f32 v30, -0.5, v0, v3
	v_add_f32_e32 v2, v2, v5
	v_sub_f32_e32 v0, v6, v18
	v_mov_b32_e32 v18, v30
	v_fmac_f32_e32 v16, 0x3e9e377a, v2
	v_fmac_f32_e32 v13, 0x3e9e377a, v2
	;; [unrolled: 1-line block ×3, first 2 shown]
	v_sub_f32_e32 v2, v10, v14
	v_sub_f32_e32 v4, v7, v11
	;; [unrolled: 1-line block ×3, first 2 shown]
	v_fmac_f32_e32 v30, 0x3f737871, v0
	v_fmac_f32_e32 v18, 0xbf167918, v2
	v_add_f32_e32 v4, v4, v5
	v_fmac_f32_e32 v30, 0x3f167918, v2
	v_fmac_f32_e32 v18, 0x3e9e377a, v4
	;; [unrolled: 1-line block ×3, first 2 shown]
	v_add_f32_e32 v4, v7, v19
	v_fmac_f32_e32 v3, -0.5, v4
	v_mov_b32_e32 v10, v3
	v_fmac_f32_e32 v10, 0x3f737871, v2
	v_sub_f32_e32 v4, v11, v7
	v_sub_f32_e32 v5, v15, v19
	v_fmac_f32_e32 v10, 0xbf167918, v0
	v_add_f32_e32 v4, v4, v5
	v_fmac_f32_e32 v3, 0xbf737871, v2
	v_fmac_f32_e32 v10, 0x3e9e377a, v4
	;; [unrolled: 1-line block ×4, first 2 shown]
	v_mul_f32_e32 v11, 0x3f4f1bbd, v1
	v_mul_f32_e32 v14, 0x3f737871, v10
	;; [unrolled: 1-line block ×5, first 2 shown]
	v_add_f32_e32 v4, v20, v12
	v_fmac_f32_e32 v11, 0x3f167918, v18
	v_fmac_f32_e32 v14, 0x3e9e377a, v16
	v_mul_f32_e32 v15, 0xbe9e377a, v13
	v_fmac_f32_e32 v19, 0x3f167918, v30
	v_fmac_f32_e32 v31, 0x3f4f1bbd, v18
	;; [unrolled: 1-line block ×3, first 2 shown]
	v_mul_f32_e32 v33, 0xbe9e377a, v3
	v_mul_f32_e32 v30, 0xbf4f1bbd, v30
	v_sub_f32_e32 v10, v20, v12
	v_mul_lo_u16_e32 v20, 10, v73
	v_add_f32_e32 v6, v23, v11
	v_add_f32_e32 v0, v26, v14
	v_fmac_f32_e32 v15, 0x3f737871, v3
	v_add_f32_e32 v5, v22, v17
	v_add_f32_e32 v7, v27, v31
	v_fmac_f32_e32 v33, 0xbf737871, v13
	v_fmac_f32_e32 v30, 0xbf167918, v9
	v_lshlrev_b32_e32 v82, 3, v20
	v_add_f32_e32 v2, v25, v15
	v_add_f32_e32 v8, v21, v19
	;; [unrolled: 1-line block ×5, first 2 shown]
	v_sub_f32_e32 v12, v23, v11
	v_sub_f32_e32 v14, v26, v14
	;; [unrolled: 1-line block ×9, first 2 shown]
	s_barrier
	ds_write_b128 v82, v[4:7]
	ds_write_b128 v82, v[0:3] offset:16
	ds_write_b128 v82, v[8:11] offset:32
	;; [unrolled: 1-line block ×4, first 2 shown]
	v_mul_lo_u16_sdwa v0, v73, s6 dst_sel:DWORD dst_unused:UNUSED_PAD src0_sel:BYTE_0 src1_sel:DWORD
	v_lshrrev_b16_e32 v37, 11, v0
	v_mul_lo_u16_e32 v0, 10, v37
	v_sub_u16_e32 v0, v73, v0
	s_mov_b32 s6, 0xcccd
	v_and_b32_e32 v38, 0xff, v0
	v_mul_u32_u24_sdwa v0, v36, s6 dst_sel:DWORD dst_unused:UNUSED_PAD src0_sel:WORD_0 src1_sel:DWORD
	v_lshlrev_b32_e32 v16, 5, v38
	v_lshrrev_b32_e32 v39, 19, v0
	s_waitcnt lgkmcnt(0)
	s_barrier
	global_load_dwordx4 v[8:11], v16, s[10:11]
	v_mul_lo_u16_e32 v0, 10, v39
	v_sub_u16_e32 v40, v36, v0
	v_lshlrev_b16_e32 v0, 2, v40
	v_lshlrev_b32_e32 v17, 3, v0
	global_load_dwordx4 v[12:15], v17, s[10:11]
	global_load_dwordx4 v[4:7], v16, s[10:11] offset:16
	global_load_dwordx4 v[0:3], v17, s[10:11] offset:16
	ds_read2_b64 v[16:19], v78 offset0:4 offset1:254
	ds_read2_b64 v[20:23], v75 offset1:250
	ds_read2_b64 v[24:27], v77 offset1:250
	ds_read2_b64 v[28:31], v76 offset0:4 offset1:254
	ds_read2_b64 v[32:35], v74 offset1:250
	v_mul_u32_u24_e32 v37, 50, v37
	s_waitcnt vmcnt(0) lgkmcnt(0)
	s_barrier
	s_movk_i32 s6, 0x48
	v_mul_f32_e32 v41, v17, v9
	v_fma_f32 v41, v16, v8, -v41
	v_mul_f32_e32 v42, v16, v9
	v_mul_f32_e32 v16, v25, v11
	v_fma_f32 v43, v24, v10, -v16
	v_mul_f32_e32 v16, v19, v13
	v_fma_f32 v45, v18, v12, -v16
	v_mul_f32_e32 v46, v18, v13
	v_mul_f32_e32 v16, v29, v5
	v_fmac_f32_e32 v46, v19, v12
	v_fma_f32 v19, v28, v4, -v16
	v_mul_f32_e32 v16, v27, v15
	v_mul_f32_e32 v44, v24, v11
	v_fma_f32 v69, v26, v14, -v16
	v_mul_f32_e32 v70, v26, v15
	v_mul_f32_e32 v16, v33, v7
	v_fmac_f32_e32 v44, v25, v10
	v_fmac_f32_e32 v70, v27, v14
	v_fma_f32 v25, v32, v6, -v16
	v_mul_f32_e32 v27, v32, v7
	v_mul_f32_e32 v16, v31, v1
	v_fmac_f32_e32 v27, v33, v6
	v_fma_f32 v33, v30, v0, -v16
	v_mul_f32_e32 v81, v30, v1
	v_mul_f32_e32 v16, v35, v3
	v_fmac_f32_e32 v81, v31, v0
	v_fma_f32 v31, v34, v2, -v16
	v_add_f32_e32 v16, v43, v19
	v_fmac_f32_e32 v42, v17, v8
	v_mul_f32_e32 v47, v28, v5
	v_fma_f32 v16, -0.5, v16, v20
	v_sub_f32_e32 v18, v41, v43
	v_sub_f32_e32 v24, v25, v19
	v_fmac_f32_e32 v47, v29, v4
	v_sub_f32_e32 v17, v42, v27
	v_add_f32_e32 v24, v18, v24
	v_mov_b32_e32 v18, v16
	v_fmac_f32_e32 v18, 0x3f737871, v17
	v_sub_f32_e32 v28, v44, v47
	v_fmac_f32_e32 v16, 0xbf737871, v17
	v_fmac_f32_e32 v18, 0x3f167918, v28
	;; [unrolled: 1-line block ×5, first 2 shown]
	v_sub_f32_e32 v24, v43, v41
	v_sub_f32_e32 v26, v19, v25
	v_add_f32_e32 v29, v24, v26
	v_add_f32_e32 v24, v41, v25
	v_fma_f32 v24, -0.5, v24, v20
	v_mov_b32_e32 v26, v24
	v_fmac_f32_e32 v26, 0xbf737871, v28
	v_fmac_f32_e32 v24, 0x3f737871, v28
	;; [unrolled: 1-line block ×4, first 2 shown]
	v_add_f32_e32 v17, v20, v41
	v_add_f32_e32 v17, v17, v43
	v_add_f32_e32 v20, v21, v42
	v_add_f32_e32 v17, v17, v19
	v_add_f32_e32 v20, v20, v44
	v_add_f32_e32 v20, v20, v47
	v_add_f32_e32 v28, v17, v25
	v_add_f32_e32 v17, v44, v47
	v_fmac_f32_e32 v26, 0x3e9e377a, v29
	v_fmac_f32_e32 v24, 0x3e9e377a, v29
	v_add_f32_e32 v29, v20, v27
	v_fma_f32 v17, -0.5, v17, v21
	v_sub_f32_e32 v20, v41, v25
	v_sub_f32_e32 v30, v43, v19
	;; [unrolled: 1-line block ×4, first 2 shown]
	v_add_f32_e32 v25, v19, v25
	v_mov_b32_e32 v19, v17
	v_fmac_f32_e32 v19, 0xbf737871, v20
	v_fmac_f32_e32 v17, 0x3f737871, v20
	;; [unrolled: 1-line block ×6, first 2 shown]
	v_add_f32_e32 v25, v42, v27
	v_fma_f32 v25, -0.5, v25, v21
	v_sub_f32_e32 v32, v47, v27
	v_mov_b32_e32 v27, v25
	v_sub_f32_e32 v21, v44, v42
	v_fmac_f32_e32 v27, 0x3f737871, v30
	v_fmac_f32_e32 v25, 0xbf737871, v30
	v_mul_f32_e32 v83, v34, v3
	v_fmac_f32_e32 v27, 0xbf167918, v20
	v_add_f32_e32 v21, v21, v32
	v_fmac_f32_e32 v25, 0x3f167918, v20
	v_add_f32_e32 v20, v69, v33
	v_fmac_f32_e32 v83, v35, v2
	v_fmac_f32_e32 v27, 0x3e9e377a, v21
	;; [unrolled: 1-line block ×3, first 2 shown]
	v_fma_f32 v20, -0.5, v20, v22
	v_sub_f32_e32 v21, v45, v69
	v_sub_f32_e32 v30, v31, v33
	v_add_f32_e32 v21, v21, v30
	v_sub_f32_e32 v34, v46, v83
	v_mov_b32_e32 v30, v20
	v_fmac_f32_e32 v30, 0x3f737871, v34
	v_sub_f32_e32 v35, v70, v81
	v_fmac_f32_e32 v20, 0xbf737871, v34
	v_fmac_f32_e32 v30, 0x3f167918, v35
	;; [unrolled: 1-line block ×3, first 2 shown]
	v_add_f32_e32 v32, v45, v31
	v_fmac_f32_e32 v30, 0x3e9e377a, v21
	v_fmac_f32_e32 v20, 0x3e9e377a, v21
	v_add_f32_e32 v21, v22, v45
	v_fma_f32 v22, -0.5, v32, v22
	v_sub_f32_e32 v32, v69, v45
	v_sub_f32_e32 v41, v33, v31
	v_add_f32_e32 v41, v32, v41
	v_mov_b32_e32 v32, v22
	v_fmac_f32_e32 v32, 0xbf737871, v35
	v_fmac_f32_e32 v22, 0x3f737871, v35
	;; [unrolled: 1-line block ×4, first 2 shown]
	v_add_f32_e32 v21, v21, v69
	v_add_f32_e32 v34, v23, v46
	;; [unrolled: 1-line block ×7, first 2 shown]
	v_fmac_f32_e32 v32, 0x3e9e377a, v41
	v_fmac_f32_e32 v22, 0x3e9e377a, v41
	v_fma_f32 v21, -0.5, v21, v23
	v_sub_f32_e32 v41, v45, v31
	v_sub_f32_e32 v42, v69, v33
	;; [unrolled: 1-line block ×4, first 2 shown]
	v_add_f32_e32 v33, v31, v33
	v_mov_b32_e32 v31, v21
	v_fmac_f32_e32 v31, 0xbf737871, v41
	v_fmac_f32_e32 v21, 0x3f737871, v41
	;; [unrolled: 1-line block ×4, first 2 shown]
	v_add_f32_e32 v35, v35, v83
	v_fmac_f32_e32 v31, 0x3e9e377a, v33
	v_fmac_f32_e32 v21, 0x3e9e377a, v33
	v_add_f32_e32 v33, v46, v83
	v_sub_f32_e32 v44, v81, v83
	v_add_lshl_u32 v83, v37, v38, 3
	v_fmac_f32_e32 v23, -0.5, v33
	ds_write2_b64 v83, v[28:29], v[18:19] offset1:10
	ds_write2_b64 v83, v[26:27], v[24:25] offset0:20 offset1:30
	ds_write_b64 v83, v[16:17] offset:320
	v_mad_legacy_u16 v16, v39, 50, v40
	v_mov_b32_e32 v33, v23
	v_lshlrev_b32_e32 v84, 3, v16
	v_mov_b32_e32 v16, 41
	v_fmac_f32_e32 v33, 0x3f737871, v42
	v_fmac_f32_e32 v23, 0xbf737871, v42
	v_mul_lo_u16_sdwa v16, v73, v16 dst_sel:DWORD dst_unused:UNUSED_PAD src0_sel:BYTE_0 src1_sel:DWORD
	v_fmac_f32_e32 v33, 0xbf167918, v41
	v_fmac_f32_e32 v23, 0x3f167918, v41
	v_lshrrev_b16_e32 v41, 11, v16
	v_mul_lo_u16_e32 v16, 50, v41
	v_sub_f32_e32 v43, v70, v46
	v_sub_u16_e32 v16, v73, v16
	v_add_f32_e32 v43, v43, v44
	v_and_b32_e32 v42, 0xff, v16
	v_mov_b32_e32 v17, s11
	v_fmac_f32_e32 v33, 0x3e9e377a, v43
	v_mov_b32_e32 v16, s10
	v_fmac_f32_e32 v23, 0x3e9e377a, v43
	ds_write2_b64 v84, v[34:35], v[30:31] offset1:10
	ds_write2_b64 v84, v[32:33], v[22:23] offset0:20 offset1:30
	ds_write_b64 v84, v[20:21] offset:320
	v_mad_u64_u32 v[32:33], s[6:7], v42, s6, v[16:17]
	s_waitcnt lgkmcnt(0)
	s_barrier
	global_load_dwordx4 v[24:27], v[32:33], off offset:320
	global_load_dwordx4 v[20:23], v[32:33], off offset:336
	;; [unrolled: 1-line block ×4, first 2 shown]
	global_load_dwordx2 v[69:70], v[32:33], off offset:384
	ds_read2_b64 v[32:35], v78 offset0:4 offset1:254
	ds_read2_b64 v[37:40], v77 offset1:250
	s_movk_i32 s6, 0x4e20
	s_waitcnt vmcnt(4) lgkmcnt(1)
	v_mul_f32_e32 v43, v33, v27
	v_fma_f32 v43, v32, v26, -v43
	v_mul_f32_e32 v44, v32, v27
	s_waitcnt vmcnt(3)
	v_mul_f32_e32 v32, v35, v21
	v_fma_f32 v45, v34, v20, -v32
	v_mul_f32_e32 v46, v34, v21
	s_waitcnt lgkmcnt(0)
	v_mul_f32_e32 v32, v38, v23
	v_fmac_f32_e32 v44, v33, v26
	v_fmac_f32_e32 v46, v35, v20
	v_fma_f32 v47, v37, v22, -v32
	ds_read2_b64 v[32:35], v76 offset0:4 offset1:254
	v_mul_f32_e32 v85, v37, v23
	s_waitcnt vmcnt(2)
	v_mul_f32_e32 v37, v40, v17
	v_fma_f32 v86, v39, v16, -v37
	v_mul_f32_e32 v87, v39, v17
	s_waitcnt lgkmcnt(0)
	v_mul_f32_e32 v37, v33, v19
	v_fmac_f32_e32 v85, v38, v22
	v_fmac_f32_e32 v87, v40, v16
	v_fma_f32 v88, v32, v18, -v37
	ds_read2_b64 v[37:40], v74 offset1:250
	v_mul_f32_e32 v89, v32, v19
	s_waitcnt vmcnt(1)
	v_mul_f32_e32 v32, v35, v29
	v_fma_f32 v90, v34, v28, -v32
	v_mul_f32_e32 v91, v34, v29
	s_waitcnt lgkmcnt(0)
	v_mul_f32_e32 v32, v38, v31
	v_fmac_f32_e32 v89, v33, v18
	v_fmac_f32_e32 v91, v35, v28
	v_fma_f32 v92, v37, v30, -v32
	ds_read2_b64 v[32:35], v75 offset1:250
	v_mul_f32_e32 v37, v37, v31
	v_fmac_f32_e32 v37, v38, v30
	s_waitcnt vmcnt(0)
	v_mul_f32_e32 v38, v40, v70
	v_fma_f32 v38, v39, v69, -v38
	v_mul_f32_e32 v39, v39, v70
	v_fmac_f32_e32 v39, v40, v69
	s_waitcnt lgkmcnt(0)
	v_mul_f32_e32 v40, v35, v25
	v_fma_f32 v40, v34, v24, -v40
	v_mul_f32_e32 v93, v34, v25
	v_add_f32_e32 v34, v47, v88
	v_fma_f32 v94, -0.5, v34, v32
	v_add_f32_e32 v34, v43, v92
	v_fma_f32 v95, -0.5, v34, v32
	;; [unrolled: 2-line block ×3, first 2 shown]
	v_add_f32_e32 v34, v44, v37
	v_fmac_f32_e32 v93, v35, v24
	v_fma_f32 v97, -0.5, v34, v33
	v_sub_f32_e32 v34, v43, v47
	v_sub_f32_e32 v35, v92, v88
	v_add_f32_e32 v98, v34, v35
	v_sub_f32_e32 v34, v44, v85
	v_sub_f32_e32 v35, v37, v89
	v_add_f32_e32 v99, v34, v35
	;; [unrolled: 3-line block ×4, first 2 shown]
	v_add_f32_e32 v35, v87, v91
	v_add_f32_e32 v34, v86, v90
	v_fma_f32 v105, -0.5, v35, v93
	v_fma_f32 v102, -0.5, v34, v40
	v_sub_f32_e32 v106, v45, v38
	v_mov_b32_e32 v35, v105
	v_sub_f32_e32 v103, v46, v39
	v_mov_b32_e32 v34, v102
	v_fmac_f32_e32 v35, 0xbf737871, v106
	v_sub_f32_e32 v107, v86, v90
	v_add_f32_e32 v32, v32, v43
	v_fmac_f32_e32 v34, 0x3f737871, v103
	v_sub_f32_e32 v104, v87, v91
	v_fmac_f32_e32 v35, 0xbf167918, v107
	v_fmac_f32_e32 v34, 0x3f167918, v104
	;; [unrolled: 1-line block ×3, first 2 shown]
	v_add_f32_e32 v32, v32, v47
	v_add_f32_e32 v33, v33, v44
	v_fmac_f32_e32 v34, 0x3e9e377a, v100
	v_mul_f32_e32 v108, 0x3f167918, v35
	v_add_f32_e32 v32, v32, v88
	v_fmac_f32_e32 v108, 0x3f4f1bbd, v34
	v_mul_f32_e32 v109, 0xbf167918, v34
	v_mul_u32_u24_e32 v34, 0x1f4, v41
	v_add_f32_e32 v41, v32, v92
	v_add_f32_e32 v32, v33, v85
	v_add_f32_e32 v32, v32, v89
	v_add_f32_e32 v112, v32, v37
	v_add_f32_e32 v32, v40, v45
	v_add_f32_e32 v32, v32, v86
	v_add_f32_e32 v32, v32, v90
	v_add_lshl_u32 v81, v34, v42, 3
	v_sub_f32_e32 v42, v44, v37
	v_mov_b32_e32 v110, v94
	v_sub_f32_e32 v113, v43, v92
	v_mov_b32_e32 v114, v96
	v_add_f32_e32 v116, v32, v38
	v_add_f32_e32 v32, v93, v46
	v_fmac_f32_e32 v110, 0x3f737871, v42
	v_sub_f32_e32 v111, v85, v89
	v_fmac_f32_e32 v114, 0xbf737871, v113
	v_sub_f32_e32 v115, v47, v88
	v_add_f32_e32 v32, v32, v87
	v_fmac_f32_e32 v110, 0x3f167918, v111
	v_fmac_f32_e32 v114, 0xbf167918, v115
	v_add_f32_e32 v32, v32, v91
	v_fmac_f32_e32 v109, 0x3f4f1bbd, v35
	v_fmac_f32_e32 v110, 0x3e9e377a, v98
	;; [unrolled: 1-line block ×3, first 2 shown]
	v_add_f32_e32 v117, v32, v39
	v_add_f32_e32 v32, v41, v116
	;; [unrolled: 1-line block ×5, first 2 shown]
	s_barrier
	ds_write2_b64 v81, v[32:33], v[34:35] offset1:50
	v_sub_f32_e32 v32, v47, v43
	v_mov_b32_e32 v43, v95
	v_sub_f32_e32 v33, v88, v92
	v_fmac_f32_e32 v43, 0xbf737871, v111
	v_fmac_f32_e32 v95, 0x3f737871, v111
	v_add_f32_e32 v32, v32, v33
	v_fmac_f32_e32 v43, 0x3f167918, v42
	v_fmac_f32_e32 v95, 0xbf167918, v42
	v_sub_f32_e32 v33, v89, v37
	v_mov_b32_e32 v37, v97
	v_fmac_f32_e32 v43, 0x3e9e377a, v32
	v_fmac_f32_e32 v95, 0x3e9e377a, v32
	v_sub_f32_e32 v32, v85, v44
	v_fmac_f32_e32 v37, 0x3f737871, v115
	v_fmac_f32_e32 v97, 0xbf737871, v115
	v_add_f32_e32 v32, v32, v33
	v_fmac_f32_e32 v37, 0xbf167918, v113
	v_fmac_f32_e32 v97, 0x3f167918, v113
	;; [unrolled: 1-line block ×4, first 2 shown]
	v_add_f32_e32 v32, v45, v38
	v_fmac_f32_e32 v40, -0.5, v32
	v_sub_f32_e32 v32, v86, v45
	v_sub_f32_e32 v33, v90, v38
	v_add_f32_e32 v32, v32, v33
	v_mov_b32_e32 v33, v40
	v_fmac_f32_e32 v33, 0xbf737871, v104
	v_fmac_f32_e32 v40, 0x3f737871, v104
	;; [unrolled: 1-line block ×6, first 2 shown]
	v_add_f32_e32 v32, v46, v39
	v_fmac_f32_e32 v93, -0.5, v32
	v_sub_f32_e32 v32, v87, v46
	v_sub_f32_e32 v34, v91, v39
	v_add_f32_e32 v32, v32, v34
	v_mov_b32_e32 v34, v93
	v_fmac_f32_e32 v34, 0x3f737871, v107
	v_fmac_f32_e32 v93, 0xbf737871, v107
	;; [unrolled: 1-line block ×6, first 2 shown]
	v_mul_f32_e32 v38, 0x3f737871, v34
	v_mul_f32_e32 v39, 0xbf737871, v33
	;; [unrolled: 1-line block ×4, first 2 shown]
	v_fmac_f32_e32 v102, 0xbf737871, v103
	v_fmac_f32_e32 v105, 0x3f737871, v106
	;; [unrolled: 1-line block ×8, first 2 shown]
	v_add_f32_e32 v32, v43, v38
	v_add_f32_e32 v33, v37, v39
	;; [unrolled: 1-line block ×4, first 2 shown]
	v_fmac_f32_e32 v94, 0xbf737871, v42
	v_fmac_f32_e32 v96, 0x3f737871, v113
	;; [unrolled: 1-line block ×4, first 2 shown]
	ds_write2_b64 v81, v[32:33], v[34:35] offset0:100 offset1:150
	v_sub_f32_e32 v32, v41, v116
	v_fmac_f32_e32 v94, 0xbf167918, v111
	v_fmac_f32_e32 v96, 0x3f167918, v115
	v_mul_f32_e32 v40, 0xbf4f1bbd, v102
	v_mul_f32_e32 v41, 0xbf4f1bbd, v105
	v_fmac_f32_e32 v94, 0x3e9e377a, v98
	v_fmac_f32_e32 v96, 0x3e9e377a, v99
	;; [unrolled: 1-line block ×4, first 2 shown]
	v_sub_f32_e32 v33, v112, v117
	v_add_f32_e32 v34, v94, v40
	v_add_f32_e32 v35, v96, v41
	ds_write2_b64 v81, v[34:35], v[32:33] offset0:200 offset1:250
	v_sub_f32_e32 v32, v110, v108
	v_sub_f32_e32 v33, v114, v109
	;; [unrolled: 1-line block ×4, first 2 shown]
	v_add_u32_e32 v85, 0x800, v81
	v_lshlrev_b32_e32 v86, 5, v73
	v_sub_f32_e32 v37, v95, v44
	v_sub_f32_e32 v38, v97, v45
	;; [unrolled: 1-line block ×4, first 2 shown]
	ds_write2_b64 v85, v[32:33], v[34:35] offset0:44 offset1:94
	ds_write2_b64 v85, v[37:38], v[39:40] offset0:144 offset1:194
	s_waitcnt lgkmcnt(0)
	s_barrier
	global_load_dwordx4 v[32:35], v86, s[10:11] offset:3920
	v_lshlrev_b32_e32 v87, 5, v36
	global_load_dwordx4 v[36:39], v87, s[10:11] offset:3920
	global_load_dwordx4 v[44:47], v86, s[10:11] offset:3936
	;; [unrolled: 1-line block ×3, first 2 shown]
	ds_read2_b64 v[86:89], v78 offset0:4 offset1:254
	s_waitcnt vmcnt(3) lgkmcnt(0)
	v_mul_f32_e32 v90, v87, v33
	v_fma_f32 v94, v86, v32, -v90
	ds_read2_b64 v[90:93], v77 offset1:250
	v_mul_f32_e32 v95, v86, v33
	s_waitcnt vmcnt(2)
	v_mul_f32_e32 v86, v89, v37
	v_fma_f32 v96, v88, v36, -v86
	v_mul_f32_e32 v97, v88, v37
	s_waitcnt lgkmcnt(0)
	v_mul_f32_e32 v86, v91, v35
	v_fmac_f32_e32 v95, v87, v32
	v_fmac_f32_e32 v97, v89, v36
	v_fma_f32 v98, v90, v34, -v86
	ds_read2_b64 v[86:89], v76 offset0:4 offset1:254
	v_mul_f32_e32 v99, v90, v35
	v_mul_f32_e32 v90, v93, v39
	v_fma_f32 v100, v92, v38, -v90
	v_mul_f32_e32 v101, v92, v39
	s_waitcnt vmcnt(1) lgkmcnt(0)
	v_mul_f32_e32 v90, v87, v45
	v_fmac_f32_e32 v99, v91, v34
	v_fmac_f32_e32 v101, v93, v38
	v_fma_f32 v102, v86, v44, -v90
	ds_read2_b64 v[90:93], v74 offset1:250
	v_mul_f32_e32 v103, v86, v45
	s_waitcnt vmcnt(0)
	v_mul_f32_e32 v86, v89, v41
	v_fma_f32 v104, v88, v40, -v86
	v_mul_f32_e32 v105, v88, v41
	s_waitcnt lgkmcnt(0)
	v_mul_f32_e32 v86, v91, v47
	v_fma_f32 v106, v90, v46, -v86
	v_mul_f32_e32 v86, v93, v43
	v_fmac_f32_e32 v103, v87, v44
	v_fmac_f32_e32 v105, v89, v40
	v_fma_f32 v108, v92, v42, -v86
	ds_read2_b64 v[86:89], v75 offset1:250
	v_mul_f32_e32 v107, v90, v47
	v_fmac_f32_e32 v107, v91, v46
	v_sub_f32_e32 v90, v94, v98
	v_sub_f32_e32 v91, v106, v102
	v_mul_f32_e32 v109, v92, v43
	v_add_f32_e32 v110, v90, v91
	v_add_f32_e32 v90, v98, v102
	;; [unrolled: 1-line block ×3, first 2 shown]
	v_fmac_f32_e32 v109, v93, v42
	s_waitcnt lgkmcnt(0)
	v_fma_f32 v90, -0.5, v90, v86
	v_fma_f32 v91, -0.5, v91, v87
	v_sub_f32_e32 v92, v95, v99
	v_sub_f32_e32 v93, v107, v103
	v_add_f32_e32 v111, v92, v93
	v_sub_f32_e32 v112, v95, v107
	v_mov_b32_e32 v92, v90
	v_mov_b32_e32 v93, v91
	v_sub_f32_e32 v114, v94, v106
	v_fmac_f32_e32 v92, 0x3f737871, v112
	v_sub_f32_e32 v113, v99, v103
	v_fmac_f32_e32 v93, 0xbf737871, v114
	;; [unrolled: 2-line block ×3, first 2 shown]
	v_fmac_f32_e32 v93, 0xbf167918, v115
	v_fmac_f32_e32 v92, 0x3e9e377a, v110
	;; [unrolled: 1-line block ×3, first 2 shown]
	ds_write_b64 v75, v[92:93] offset:4000
	v_add_f32_e32 v92, v86, v94
	v_sub_f32_e32 v93, v98, v94
	v_add_f32_e32 v94, v94, v106
	v_add_f32_e32 v92, v92, v98
	v_sub_f32_e32 v98, v102, v106
	v_fma_f32 v86, -0.5, v94, v86
	v_add_f32_e32 v94, v95, v107
	v_add_f32_e32 v98, v93, v98
	;; [unrolled: 1-line block ×3, first 2 shown]
	v_fma_f32 v87, -0.5, v94, v87
	v_sub_f32_e32 v94, v99, v95
	v_sub_f32_e32 v95, v103, v107
	v_add_f32_e32 v93, v93, v99
	v_add_f32_e32 v99, v94, v95
	v_mov_b32_e32 v94, v86
	v_mov_b32_e32 v95, v87
	v_fmac_f32_e32 v86, 0x3f737871, v113
	v_fmac_f32_e32 v87, 0xbf737871, v115
	v_fmac_f32_e32 v86, 0xbf167918, v112
	v_fmac_f32_e32 v87, 0x3f167918, v114
	v_fmac_f32_e32 v86, 0x3e9e377a, v98
	v_fmac_f32_e32 v87, 0x3e9e377a, v99
	ds_write_b64 v75, v[86:87] offset:12000
	v_add_f32_e32 v86, v88, v96
	v_add_f32_e32 v87, v89, v97
	v_fmac_f32_e32 v94, 0xbf737871, v113
	v_fmac_f32_e32 v95, 0x3f737871, v115
	v_fmac_f32_e32 v90, 0xbf737871, v112
	v_fmac_f32_e32 v91, 0x3f737871, v114
	v_add_f32_e32 v86, v86, v100
	v_add_f32_e32 v87, v87, v101
	v_add_f32_e32 v92, v92, v102
	v_add_f32_e32 v93, v93, v103
	v_fmac_f32_e32 v94, 0x3f167918, v112
	v_fmac_f32_e32 v95, 0xbf167918, v114
	v_fmac_f32_e32 v90, 0xbf167918, v113
	v_fmac_f32_e32 v91, 0x3f167918, v115
	v_add_f32_e32 v86, v86, v104
	v_add_f32_e32 v87, v87, v105
	;; [unrolled: 8-line block ×3, first 2 shown]
	ds_write_b64 v75, v[94:95] offset:8000
	ds_write_b64 v75, v[90:91] offset:16000
	ds_write2_b64 v75, v[92:93], v[86:87] offset1:250
	v_add_f32_e32 v86, v100, v104
	v_add_f32_e32 v87, v96, v108
	v_fma_f32 v86, -0.5, v86, v88
	v_fma_f32 v88, -0.5, v87, v88
	v_sub_f32_e32 v87, v100, v96
	v_sub_f32_e32 v90, v104, v108
	v_add_f32_e32 v92, v87, v90
	v_add_f32_e32 v87, v101, v105
	;; [unrolled: 1-line block ×3, first 2 shown]
	v_fma_f32 v87, -0.5, v87, v89
	v_fmac_f32_e32 v89, -0.5, v90
	v_sub_f32_e32 v90, v101, v97
	v_sub_f32_e32 v91, v105, v109
	v_sub_f32_e32 v94, v101, v105
	v_sub_f32_e32 v98, v100, v104
	v_add_f32_e32 v93, v90, v91
	v_mov_b32_e32 v90, v88
	v_fmac_f32_e32 v88, 0x3f737871, v94
	v_sub_f32_e32 v95, v97, v109
	v_mov_b32_e32 v91, v89
	v_fmac_f32_e32 v89, 0xbf737871, v98
	v_sub_f32_e32 v99, v96, v108
	v_fmac_f32_e32 v88, 0xbf167918, v95
	v_fmac_f32_e32 v89, 0x3f167918, v99
	;; [unrolled: 1-line block ×4, first 2 shown]
	ds_write_b64 v75, v[88:89] offset:14000
	v_sub_f32_e32 v88, v96, v100
	v_sub_f32_e32 v89, v108, v104
	v_add_f32_e32 v96, v88, v89
	v_sub_f32_e32 v88, v97, v101
	v_sub_f32_e32 v89, v109, v105
	v_add_f32_e32 v97, v88, v89
	v_mov_b32_e32 v88, v86
	v_mov_b32_e32 v89, v87
	v_fmac_f32_e32 v88, 0x3f737871, v95
	v_fmac_f32_e32 v89, 0xbf737871, v99
	;; [unrolled: 1-line block ×18, first 2 shown]
	ds_write_b64 v75, v[88:89] offset:6000
	ds_write_b64 v75, v[90:91] offset:10000
	;; [unrolled: 1-line block ×3, first 2 shown]
	s_waitcnt lgkmcnt(0)
	s_barrier
	global_load_dwordx2 v[71:72], v[71:72], off offset:3616
	v_add_co_u32_e32 v86, vcc, s6, v79
	v_addc_co_u32_e32 v87, vcc, 0, v80, vcc
	global_load_dwordx2 v[90:91], v[86:87], off offset:2000
	global_load_dwordx2 v[92:93], v[86:87], off offset:4000
	s_movk_i32 s6, 0x6000
	v_add_co_u32_e32 v86, vcc, s6, v79
	v_addc_co_u32_e32 v87, vcc, 0, v80, vcc
	global_load_dwordx2 v[94:95], v[86:87], off offset:1424
	global_load_dwordx2 v[96:97], v[86:87], off offset:3424
	s_movk_i32 s6, 0x7000
	v_add_co_u32_e32 v86, vcc, s6, v79
	v_addc_co_u32_e32 v87, vcc, 0, v80, vcc
	global_load_dwordx2 v[98:99], v[86:87], off offset:1328
	global_load_dwordx2 v[100:101], v[86:87], off offset:3328
	s_mov_b32 s6, 0x8000
	v_add_co_u32_e32 v86, vcc, s6, v79
	v_addc_co_u32_e32 v87, vcc, 0, v80, vcc
	s_mov_b32 s6, 0x9000
	global_load_dwordx2 v[102:103], v[86:87], off offset:1232
	global_load_dwordx2 v[104:105], v[86:87], off offset:3232
	v_add_co_u32_e32 v79, vcc, s6, v79
	v_addc_co_u32_e32 v80, vcc, 0, v80, vcc
	global_load_dwordx2 v[79:80], v[79:80], off offset:1136
	ds_read2_b64 v[86:89], v75 offset1:250
	s_waitcnt vmcnt(9) lgkmcnt(0)
	v_mul_f32_e32 v106, v87, v72
	v_mul_f32_e32 v107, v86, v72
	v_fma_f32 v106, v86, v71, -v106
	v_fmac_f32_e32 v107, v87, v71
	s_waitcnt vmcnt(8)
	v_mul_f32_e32 v71, v89, v91
	v_mul_f32_e32 v72, v88, v91
	v_fma_f32 v71, v88, v90, -v71
	v_fmac_f32_e32 v72, v89, v90
	ds_write2_b64 v75, v[106:107], v[71:72] offset1:250
	ds_read2_b64 v[86:89], v78 offset0:4 offset1:254
	s_waitcnt vmcnt(7) lgkmcnt(0)
	v_mul_f32_e32 v71, v87, v93
	v_mul_f32_e32 v72, v86, v93
	v_fma_f32 v71, v86, v92, -v71
	v_fmac_f32_e32 v72, v87, v92
	ds_read2_b64 v[90:93], v77 offset1:250
	s_waitcnt vmcnt(6)
	v_mul_f32_e32 v86, v89, v95
	v_fma_f32 v106, v88, v94, -v86
	v_mul_f32_e32 v107, v88, v95
	v_fmac_f32_e32 v107, v89, v94
	s_waitcnt vmcnt(5) lgkmcnt(0)
	v_mul_f32_e32 v86, v91, v97
	v_fma_f32 v94, v90, v96, -v86
	ds_read2_b64 v[86:89], v76 offset0:4 offset1:254
	v_mul_f32_e32 v95, v90, v97
	s_waitcnt vmcnt(4)
	v_mul_f32_e32 v90, v93, v99
	v_fmac_f32_e32 v95, v91, v96
	v_fma_f32 v96, v92, v98, -v90
	v_mul_f32_e32 v97, v92, v99
	s_waitcnt vmcnt(3) lgkmcnt(0)
	v_mul_f32_e32 v90, v87, v101
	v_fmac_f32_e32 v97, v93, v98
	v_fma_f32 v98, v86, v100, -v90
	ds_read2_b64 v[90:93], v74 offset1:250
	v_mul_f32_e32 v99, v86, v101
	v_fmac_f32_e32 v99, v87, v100
	s_waitcnt vmcnt(2)
	v_mul_f32_e32 v86, v89, v103
	v_mul_f32_e32 v87, v88, v103
	v_fma_f32 v86, v88, v102, -v86
	v_fmac_f32_e32 v87, v89, v102
	s_waitcnt vmcnt(1) lgkmcnt(0)
	v_mul_f32_e32 v88, v91, v105
	v_mul_f32_e32 v89, v90, v105
	v_fma_f32 v88, v90, v104, -v88
	v_fmac_f32_e32 v89, v91, v104
	s_waitcnt vmcnt(0)
	v_mul_f32_e32 v90, v93, v80
	v_mul_f32_e32 v91, v92, v80
	v_fma_f32 v90, v92, v79, -v90
	v_fmac_f32_e32 v91, v93, v79
	ds_write2_b64 v78, v[71:72], v[106:107] offset0:4 offset1:254
	ds_write2_b64 v77, v[94:95], v[96:97] offset1:250
	ds_write2_b64 v76, v[98:99], v[86:87] offset0:4 offset1:254
	ds_write2_b64 v74, v[88:89], v[90:91] offset1:250
	s_waitcnt lgkmcnt(0)
	s_barrier
	ds_read2_b64 v[86:89], v75 offset1:250
	ds_read2_b64 v[90:93], v78 offset0:4 offset1:254
	ds_read2_b64 v[94:97], v77 offset1:250
	ds_read2_b64 v[98:101], v76 offset0:4 offset1:254
	ds_read2_b64 v[102:105], v74 offset1:250
	s_waitcnt lgkmcnt(0)
	v_add_f32_e32 v71, v86, v90
	v_add_f32_e32 v72, v87, v91
	;; [unrolled: 1-line block ×4, first 2 shown]
	v_sub_f32_e32 v107, v95, v99
	v_sub_f32_e32 v108, v90, v94
	;; [unrolled: 1-line block ×3, first 2 shown]
	v_add_f32_e32 v110, v95, v99
	v_sub_f32_e32 v111, v91, v95
	v_sub_f32_e32 v95, v95, v91
	v_add_f32_e32 v112, v96, v100
	v_add_f32_e32 v116, v97, v101
	v_sub_f32_e32 v118, v91, v103
	v_add_f32_e32 v119, v90, v102
	v_sub_f32_e32 v120, v90, v102
	v_add_f32_e32 v121, v91, v103
	v_add_f32_e32 v71, v71, v98
	;; [unrolled: 1-line block ×3, first 2 shown]
	v_sub_f32_e32 v90, v102, v98
	v_sub_f32_e32 v91, v103, v99
	v_add_f32_e32 v79, v88, v92
	v_add_f32_e32 v80, v89, v93
	;; [unrolled: 1-line block ×3, first 2 shown]
	v_sub_f32_e32 v94, v94, v98
	v_sub_f32_e32 v98, v98, v102
	;; [unrolled: 1-line block ×3, first 2 shown]
	v_add_f32_e32 v71, v71, v102
	v_add_f32_e32 v72, v72, v103
	;; [unrolled: 1-line block ×4, first 2 shown]
	v_fma_f32 v108, -0.5, v112, v88
	v_fma_f32 v111, -0.5, v116, v89
	v_add_f32_e32 v79, v79, v96
	v_add_f32_e32 v80, v80, v97
	v_sub_f32_e32 v122, v93, v105
	v_sub_f32_e32 v124, v92, v104
	v_mov_b32_e32 v90, v108
	v_mov_b32_e32 v91, v111
	v_sub_f32_e32 v113, v97, v101
	v_sub_f32_e32 v114, v92, v96
	;; [unrolled: 1-line block ×6, first 2 shown]
	v_add_f32_e32 v123, v92, v104
	v_add_f32_e32 v125, v93, v105
	;; [unrolled: 1-line block ×4, first 2 shown]
	v_sub_f32_e32 v92, v104, v100
	v_sub_f32_e32 v93, v105, v101
	v_fmac_f32_e32 v90, 0xbf737871, v122
	v_fmac_f32_e32 v91, 0x3f737871, v124
	v_fma_f32 v106, -0.5, v106, v86
	v_fma_f32 v110, -0.5, v110, v87
	v_sub_f32_e32 v100, v100, v104
	v_sub_f32_e32 v101, v101, v105
	v_add_f32_e32 v79, v79, v104
	v_add_f32_e32 v80, v80, v105
	;; [unrolled: 1-line block ×4, first 2 shown]
	v_fmac_f32_e32 v90, 0xbf167918, v113
	v_fmac_f32_e32 v91, 0x3f167918, v96
	v_mov_b32_e32 v116, v106
	v_mov_b32_e32 v117, v110
	v_fmac_f32_e32 v90, 0x3e9e377a, v104
	v_fmac_f32_e32 v91, 0x3e9e377a, v105
	;; [unrolled: 1-line block ×4, first 2 shown]
	v_mul_f32_e32 v112, 0xbf167918, v91
	v_mul_f32_e32 v114, 0x3f167918, v90
	v_fmac_f32_e32 v116, 0xbf167918, v107
	v_fmac_f32_e32 v117, 0x3f167918, v94
	;; [unrolled: 1-line block ×6, first 2 shown]
	v_add_f32_e32 v90, v71, v79
	v_add_f32_e32 v92, v116, v112
	;; [unrolled: 1-line block ×4, first 2 shown]
	s_barrier
	ds_write_b128 v82, v[90:93]
	v_fma_f32 v91, -0.5, v119, v86
	v_fmac_f32_e32 v89, -0.5, v125
	v_fma_f32 v86, -0.5, v123, v88
	v_add_f32_e32 v88, v109, v98
	v_mov_b32_e32 v98, v91
	v_fma_f32 v92, -0.5, v121, v87
	v_mov_b32_e32 v87, v89
	v_fmac_f32_e32 v89, 0x3f737871, v96
	v_fmac_f32_e32 v98, 0x3f737871, v107
	;; [unrolled: 1-line block ×3, first 2 shown]
	v_add_f32_e32 v90, v97, v101
	v_fmac_f32_e32 v89, 0xbf167918, v124
	v_fmac_f32_e32 v98, 0xbf167918, v118
	;; [unrolled: 1-line block ×6, first 2 shown]
	v_add_f32_e32 v88, v95, v99
	v_mov_b32_e32 v95, v92
	v_mul_f32_e32 v93, 0xbf737871, v89
	v_mul_f32_e32 v97, 0xbe9e377a, v89
	v_fmac_f32_e32 v95, 0xbf737871, v94
	v_fmac_f32_e32 v92, 0x3f737871, v94
	v_mov_b32_e32 v89, v86
	v_fmac_f32_e32 v87, 0xbf737871, v96
	v_fmac_f32_e32 v95, 0x3f167918, v120
	;; [unrolled: 1-line block ×8, first 2 shown]
	v_add_f32_e32 v88, v115, v100
	v_fmac_f32_e32 v89, 0xbf167918, v122
	v_fmac_f32_e32 v86, 0x3f167918, v122
	;; [unrolled: 1-line block ×5, first 2 shown]
	v_mul_f32_e32 v90, 0xbf737871, v87
	v_mul_f32_e32 v99, 0x3e9e377a, v87
	v_fmac_f32_e32 v111, 0xbf737871, v124
	v_fmac_f32_e32 v90, 0x3e9e377a, v89
	;; [unrolled: 1-line block ×7, first 2 shown]
	v_add_f32_e32 v86, v98, v90
	v_add_f32_e32 v88, v91, v93
	;; [unrolled: 1-line block ×4, first 2 shown]
	v_fmac_f32_e32 v106, 0x3f737871, v118
	v_fmac_f32_e32 v110, 0xbf737871, v120
	;; [unrolled: 1-line block ×4, first 2 shown]
	ds_write_b128 v82, v[86:89] offset:16
	v_sub_f32_e32 v88, v71, v79
	v_sub_f32_e32 v89, v72, v80
	v_fmac_f32_e32 v106, 0x3f167918, v107
	v_fmac_f32_e32 v110, 0xbf167918, v94
	;; [unrolled: 1-line block ×3, first 2 shown]
	v_mul_f32_e32 v71, 0xbf167918, v111
	v_mul_f32_e32 v72, 0xbf4f1bbd, v111
	v_fmac_f32_e32 v106, 0x3e9e377a, v102
	v_fmac_f32_e32 v110, 0x3e9e377a, v103
	;; [unrolled: 1-line block ×4, first 2 shown]
	v_add_f32_e32 v86, v106, v71
	v_add_f32_e32 v87, v110, v72
	ds_write_b128 v82, v[86:89] offset:32
	v_sub_f32_e32 v86, v116, v112
	v_sub_f32_e32 v88, v98, v90
	;; [unrolled: 1-line block ×4, first 2 shown]
	ds_write_b128 v82, v[86:89] offset:48
	v_sub_f32_e32 v86, v91, v93
	v_sub_f32_e32 v88, v106, v71
	;; [unrolled: 1-line block ×4, first 2 shown]
	ds_write_b128 v82, v[86:89] offset:64
	s_waitcnt lgkmcnt(0)
	s_barrier
	ds_read2_b64 v[86:89], v78 offset0:4 offset1:254
	ds_read2_b64 v[90:93], v77 offset1:250
	s_waitcnt lgkmcnt(1)
	v_mul_f32_e32 v71, v9, v87
	v_mul_f32_e32 v9, v9, v86
	v_fmac_f32_e32 v71, v8, v86
	v_fma_f32 v72, v8, v87, -v9
	s_waitcnt lgkmcnt(0)
	v_mul_f32_e32 v8, v11, v90
	v_mul_f32_e32 v79, v11, v91
	v_fma_f32 v80, v10, v91, -v8
	v_mul_f32_e32 v82, v13, v89
	v_mul_f32_e32 v8, v13, v88
	v_fmac_f32_e32 v79, v10, v90
	v_fmac_f32_e32 v82, v12, v88
	v_fma_f32 v86, v12, v89, -v8
	v_mul_f32_e32 v87, v15, v93
	ds_read2_b64 v[8:11], v76 offset0:4 offset1:254
	v_mul_f32_e32 v12, v15, v92
	v_fmac_f32_e32 v87, v14, v92
	v_fma_f32 v88, v14, v93, -v12
	ds_read2_b64 v[12:15], v74 offset1:250
	s_waitcnt lgkmcnt(1)
	v_mul_f32_e32 v89, v5, v9
	v_mul_f32_e32 v5, v5, v8
	v_fmac_f32_e32 v89, v4, v8
	v_fma_f32 v90, v4, v9, -v5
	s_waitcnt lgkmcnt(0)
	v_mul_f32_e32 v91, v7, v13
	v_mul_f32_e32 v4, v7, v12
	v_fmac_f32_e32 v91, v6, v12
	v_fma_f32 v12, v6, v13, -v4
	v_mul_f32_e32 v13, v1, v11
	v_mul_f32_e32 v1, v1, v10
	v_fmac_f32_e32 v13, v0, v10
	v_fma_f32 v92, v0, v11, -v1
	v_mul_f32_e32 v93, v3, v15
	v_mul_f32_e32 v0, v3, v14
	ds_read2_b64 v[3:6], v75 offset1:250
	v_fmac_f32_e32 v93, v2, v14
	v_fma_f32 v14, v2, v15, -v0
	v_add_f32_e32 v2, v79, v89
	v_sub_f32_e32 v0, v71, v79
	s_waitcnt lgkmcnt(0)
	v_fma_f32 v7, -0.5, v2, v3
	v_add_f32_e32 v2, v80, v90
	v_sub_f32_e32 v1, v91, v89
	v_fma_f32 v8, -0.5, v2, v4
	v_sub_f32_e32 v2, v72, v80
	v_sub_f32_e32 v9, v12, v90
	v_add_f32_e32 v11, v0, v1
	v_add_f32_e32 v0, v3, v71
	v_add_f32_e32 v1, v4, v72
	v_add_f32_e32 v15, v2, v9
	v_sub_f32_e32 v94, v72, v12
	v_mov_b32_e32 v9, v7
	v_mov_b32_e32 v10, v8
	v_sub_f32_e32 v96, v71, v91
	v_add_f32_e32 v0, v0, v79
	v_add_f32_e32 v1, v1, v80
	v_fmac_f32_e32 v9, 0xbf737871, v94
	v_sub_f32_e32 v95, v80, v90
	v_fmac_f32_e32 v10, 0x3f737871, v96
	v_sub_f32_e32 v97, v79, v89
	v_add_f32_e32 v0, v0, v89
	v_add_f32_e32 v1, v1, v90
	v_fmac_f32_e32 v9, 0xbf167918, v95
	v_fmac_f32_e32 v10, 0x3f167918, v97
	v_add_f32_e32 v0, v0, v91
	v_add_f32_e32 v1, v1, v12
	v_fmac_f32_e32 v9, 0x3e9e377a, v11
	v_fmac_f32_e32 v10, 0x3e9e377a, v15
	s_barrier
	ds_write2_b64 v83, v[0:1], v[9:10] offset1:10
	v_sub_f32_e32 v0, v79, v71
	v_add_f32_e32 v1, v71, v91
	v_sub_f32_e32 v2, v89, v91
	v_add_f32_e32 v9, v0, v2
	v_fma_f32 v0, -0.5, v1, v3
	v_add_f32_e32 v1, v72, v12
	v_fma_f32 v1, -0.5, v1, v4
	v_sub_f32_e32 v3, v80, v72
	v_sub_f32_e32 v4, v90, v12
	v_mov_b32_e32 v2, v0
	v_add_f32_e32 v4, v3, v4
	v_mov_b32_e32 v3, v1
	v_fmac_f32_e32 v2, 0x3f737871, v95
	v_fmac_f32_e32 v0, 0xbf737871, v95
	;; [unrolled: 1-line block ×12, first 2 shown]
	ds_write2_b64 v83, v[2:3], v[0:1] offset0:20 offset1:30
	v_sub_f32_e32 v0, v82, v87
	v_sub_f32_e32 v1, v93, v13
	v_add_f32_e32 v1, v0, v1
	v_add_f32_e32 v0, v87, v13
	v_fma_f32 v0, -0.5, v0, v5
	v_sub_f32_e32 v3, v86, v14
	v_mov_b32_e32 v2, v0
	v_fmac_f32_e32 v2, 0xbf737871, v3
	v_sub_f32_e32 v4, v88, v92
	v_fmac_f32_e32 v0, 0x3f737871, v3
	v_fmac_f32_e32 v2, 0xbf167918, v4
	;; [unrolled: 1-line block ×3, first 2 shown]
	v_add_f32_e32 v9, v82, v93
	v_fmac_f32_e32 v2, 0x3e9e377a, v1
	v_fmac_f32_e32 v0, 0x3e9e377a, v1
	v_add_f32_e32 v1, v5, v82
	v_fma_f32 v5, -0.5, v9, v5
	v_sub_f32_e32 v9, v87, v82
	v_sub_f32_e32 v10, v13, v93
	v_add_f32_e32 v10, v9, v10
	v_mov_b32_e32 v9, v5
	v_fmac_f32_e32 v9, 0x3f737871, v4
	v_fmac_f32_e32 v5, 0xbf737871, v4
	;; [unrolled: 1-line block ×5, first 2 shown]
	v_add_f32_e32 v1, v1, v87
	v_add_f32_e32 v3, v6, v86
	v_fmac_f32_e32 v7, 0x3f167918, v95
	v_add_f32_e32 v1, v1, v13
	v_add_f32_e32 v3, v3, v88
	v_fmac_f32_e32 v7, 0x3e9e377a, v11
	v_add_f32_e32 v3, v3, v92
	v_add_f32_e32 v11, v1, v93
	;; [unrolled: 1-line block ×3, first 2 shown]
	v_fmac_f32_e32 v9, 0x3e9e377a, v10
	v_fmac_f32_e32 v5, 0x3e9e377a, v10
	v_add_f32_e32 v12, v3, v14
	v_fma_f32 v1, -0.5, v1, v6
	v_sub_f32_e32 v3, v86, v88
	v_sub_f32_e32 v10, v14, v92
	;; [unrolled: 1-line block ×3, first 2 shown]
	v_add_f32_e32 v10, v3, v10
	v_mov_b32_e32 v3, v1
	v_sub_f32_e32 v13, v87, v13
	v_fmac_f32_e32 v3, 0x3f737871, v4
	v_fmac_f32_e32 v1, 0xbf737871, v4
	;; [unrolled: 1-line block ×6, first 2 shown]
	v_add_f32_e32 v10, v86, v14
	v_fmac_f32_e32 v6, -0.5, v10
	v_sub_f32_e32 v10, v88, v86
	v_sub_f32_e32 v14, v92, v14
	v_fmac_f32_e32 v8, 0xbf737871, v96
	v_add_f32_e32 v14, v10, v14
	v_mov_b32_e32 v10, v6
	v_fmac_f32_e32 v8, 0xbf167918, v97
	v_fmac_f32_e32 v10, 0xbf737871, v13
	v_fmac_f32_e32 v6, 0x3f737871, v13
	v_fmac_f32_e32 v8, 0x3e9e377a, v15
	v_fmac_f32_e32 v10, 0x3f167918, v4
	v_fmac_f32_e32 v6, 0xbf167918, v4
	v_fmac_f32_e32 v10, 0x3e9e377a, v14
	v_fmac_f32_e32 v6, 0x3e9e377a, v14
	ds_write_b64 v83, v[7:8] offset:320
	ds_write2_b64 v84, v[11:12], v[2:3] offset1:10
	ds_write2_b64 v84, v[9:10], v[5:6] offset0:20 offset1:30
	ds_write_b64 v84, v[0:1] offset:320
	s_waitcnt lgkmcnt(0)
	s_barrier
	ds_read2_b64 v[2:5], v75 offset1:250
	ds_read2_b64 v[6:9], v78 offset0:4 offset1:254
	v_mad_u64_u32 v[0:1], s[6:7], s2, v50, 0
	s_load_dwordx2 s[6:7], s[4:5], 0x38
	s_waitcnt lgkmcnt(0)
	v_mul_f32_e32 v12, v25, v5
	v_fmac_f32_e32 v12, v24, v4
	v_mul_f32_e32 v4, v25, v4
	v_fma_f32 v13, v24, v5, -v4
	v_mul_f32_e32 v14, v27, v7
	v_mul_f32_e32 v4, v27, v6
	v_fmac_f32_e32 v14, v26, v6
	v_fma_f32 v15, v26, v7, -v4
	ds_read2_b64 v[4:7], v77 offset1:250
	v_mul_f32_e32 v24, v21, v9
	v_fmac_f32_e32 v24, v20, v8
	v_mul_f32_e32 v8, v21, v8
	v_fma_f32 v20, v20, v9, -v8
	ds_read2_b64 v[8:11], v76 offset0:4 offset1:254
	s_waitcnt lgkmcnt(1)
	v_mul_f32_e32 v21, v23, v5
	v_fmac_f32_e32 v21, v22, v4
	v_mul_f32_e32 v4, v23, v4
	v_fma_f32 v22, v22, v5, -v4
	v_mul_f32_e32 v23, v17, v7
	v_mul_f32_e32 v4, v17, v6
	v_fmac_f32_e32 v23, v16, v6
	v_fma_f32 v16, v16, v7, -v4
	s_waitcnt lgkmcnt(0)
	v_mul_f32_e32 v17, v19, v9
	v_mul_f32_e32 v4, v19, v8
	v_fmac_f32_e32 v17, v18, v8
	v_fma_f32 v8, v18, v9, -v4
	ds_read2_b64 v[4:7], v74 offset1:250
	v_mul_f32_e32 v9, v29, v11
	v_fmac_f32_e32 v9, v28, v10
	v_mul_f32_e32 v10, v29, v10
	v_fma_f32 v10, v28, v11, -v10
	s_waitcnt lgkmcnt(0)
	v_mul_f32_e32 v11, v31, v5
	v_fmac_f32_e32 v11, v30, v4
	v_mul_f32_e32 v4, v31, v4
	v_fma_f32 v4, v30, v5, -v4
	v_mul_f32_e32 v5, v70, v7
	v_fmac_f32_e32 v5, v69, v6
	v_mul_f32_e32 v6, v70, v6
	v_fma_f32 v6, v69, v7, -v6
	v_add_f32_e32 v7, v2, v14
	v_add_f32_e32 v7, v7, v21
	;; [unrolled: 1-line block ×5, first 2 shown]
	v_fma_f32 v19, -0.5, v7, v2
	v_sub_f32_e32 v7, v15, v4
	v_mov_b32_e32 v25, v19
	v_fmac_f32_e32 v25, 0xbf737871, v7
	v_sub_f32_e32 v26, v22, v8
	v_sub_f32_e32 v27, v14, v21
	;; [unrolled: 1-line block ×3, first 2 shown]
	v_fmac_f32_e32 v19, 0x3f737871, v7
	v_fmac_f32_e32 v25, 0xbf167918, v26
	v_add_f32_e32 v27, v27, v28
	v_fmac_f32_e32 v19, 0x3f167918, v26
	v_fmac_f32_e32 v25, 0x3e9e377a, v27
	;; [unrolled: 1-line block ×3, first 2 shown]
	v_add_f32_e32 v27, v14, v11
	v_fma_f32 v27, -0.5, v27, v2
	v_mov_b32_e32 v28, v27
	v_fmac_f32_e32 v28, 0x3f737871, v26
	v_sub_f32_e32 v2, v21, v14
	v_sub_f32_e32 v29, v17, v11
	v_fmac_f32_e32 v27, 0xbf737871, v26
	v_fmac_f32_e32 v28, 0xbf167918, v7
	v_add_f32_e32 v2, v2, v29
	v_fmac_f32_e32 v27, 0x3f167918, v7
	v_fmac_f32_e32 v28, 0x3e9e377a, v2
	v_fmac_f32_e32 v27, 0x3e9e377a, v2
	v_add_f32_e32 v2, v3, v15
	v_add_f32_e32 v2, v2, v22
	;; [unrolled: 1-line block ×5, first 2 shown]
	v_fma_f32 v29, -0.5, v2, v3
	v_sub_f32_e32 v2, v14, v11
	v_mov_b32_e32 v30, v29
	v_fmac_f32_e32 v30, 0x3f737871, v2
	v_sub_f32_e32 v7, v21, v17
	v_sub_f32_e32 v11, v15, v22
	;; [unrolled: 1-line block ×3, first 2 shown]
	v_fmac_f32_e32 v29, 0xbf737871, v2
	v_fmac_f32_e32 v30, 0x3f167918, v7
	v_add_f32_e32 v11, v11, v14
	v_fmac_f32_e32 v29, 0xbf167918, v7
	v_fmac_f32_e32 v30, 0x3e9e377a, v11
	;; [unrolled: 1-line block ×3, first 2 shown]
	v_add_f32_e32 v11, v15, v4
	v_fma_f32 v21, -0.5, v11, v3
	v_mov_b32_e32 v17, v21
	v_fmac_f32_e32 v17, 0xbf737871, v7
	v_fmac_f32_e32 v21, 0x3f737871, v7
	;; [unrolled: 1-line block ×4, first 2 shown]
	v_add_f32_e32 v2, v12, v24
	v_add_f32_e32 v2, v2, v23
	;; [unrolled: 1-line block ×3, first 2 shown]
	v_sub_f32_e32 v3, v22, v15
	v_sub_f32_e32 v4, v8, v4
	v_add_f32_e32 v14, v2, v5
	v_add_f32_e32 v2, v23, v9
	;; [unrolled: 1-line block ×3, first 2 shown]
	v_fma_f32 v11, -0.5, v2, v12
	v_fmac_f32_e32 v17, 0x3e9e377a, v3
	v_fmac_f32_e32 v21, 0x3e9e377a, v3
	v_sub_f32_e32 v2, v20, v6
	v_mov_b32_e32 v3, v11
	v_fmac_f32_e32 v3, 0xbf737871, v2
	v_sub_f32_e32 v4, v16, v10
	v_sub_f32_e32 v7, v24, v23
	;; [unrolled: 1-line block ×3, first 2 shown]
	v_fmac_f32_e32 v11, 0x3f737871, v2
	v_fmac_f32_e32 v3, 0xbf167918, v4
	v_add_f32_e32 v7, v7, v8
	v_fmac_f32_e32 v11, 0x3f167918, v4
	v_fmac_f32_e32 v3, 0x3e9e377a, v7
	;; [unrolled: 1-line block ×3, first 2 shown]
	v_add_f32_e32 v7, v24, v5
	v_fmac_f32_e32 v12, -0.5, v7
	v_mov_b32_e32 v7, v12
	v_fmac_f32_e32 v7, 0x3f737871, v4
	v_fmac_f32_e32 v12, 0xbf737871, v4
	;; [unrolled: 1-line block ×4, first 2 shown]
	v_add_f32_e32 v2, v13, v20
	v_add_f32_e32 v2, v2, v16
	v_sub_f32_e32 v8, v23, v24
	v_sub_f32_e32 v15, v9, v5
	v_add_f32_e32 v2, v2, v10
	v_add_f32_e32 v8, v8, v15
	;; [unrolled: 1-line block ×4, first 2 shown]
	v_fma_f32 v22, -0.5, v2, v13
	v_sub_f32_e32 v2, v24, v5
	v_mov_b32_e32 v5, v22
	v_fmac_f32_e32 v7, 0x3e9e377a, v8
	v_fmac_f32_e32 v12, 0x3e9e377a, v8
	;; [unrolled: 1-line block ×3, first 2 shown]
	v_sub_f32_e32 v4, v23, v9
	v_sub_f32_e32 v8, v20, v16
	;; [unrolled: 1-line block ×3, first 2 shown]
	v_fmac_f32_e32 v22, 0xbf737871, v2
	v_fmac_f32_e32 v5, 0x3f167918, v4
	v_add_f32_e32 v8, v8, v9
	v_fmac_f32_e32 v22, 0xbf167918, v4
	v_fmac_f32_e32 v5, 0x3e9e377a, v8
	;; [unrolled: 1-line block ×3, first 2 shown]
	v_add_f32_e32 v8, v20, v6
	v_fmac_f32_e32 v13, -0.5, v8
	v_mov_b32_e32 v9, v13
	v_fmac_f32_e32 v9, 0xbf737871, v4
	v_sub_f32_e32 v8, v16, v20
	v_sub_f32_e32 v6, v10, v6
	v_fmac_f32_e32 v13, 0x3f737871, v4
	v_fmac_f32_e32 v9, 0x3f167918, v2
	v_add_f32_e32 v6, v8, v6
	v_fmac_f32_e32 v13, 0xbf167918, v2
	v_fmac_f32_e32 v9, 0x3e9e377a, v6
	;; [unrolled: 1-line block ×3, first 2 shown]
	v_mul_f32_e32 v16, 0xbf167918, v5
	v_mul_f32_e32 v20, 0xbf737871, v9
	;; [unrolled: 1-line block ×8, first 2 shown]
	v_fmac_f32_e32 v16, 0x3f4f1bbd, v3
	v_fmac_f32_e32 v20, 0x3e9e377a, v7
	;; [unrolled: 1-line block ×8, first 2 shown]
	v_add_f32_e32 v2, v18, v14
	v_add_f32_e32 v4, v25, v16
	;; [unrolled: 1-line block ×10, first 2 shown]
	v_sub_f32_e32 v12, v18, v14
	v_sub_f32_e32 v14, v25, v16
	;; [unrolled: 1-line block ×10, first 2 shown]
	s_barrier
	ds_write2_b64 v81, v[2:3], v[4:5] offset1:50
	ds_write2_b64 v81, v[6:7], v[8:9] offset0:100 offset1:150
	ds_write2_b64 v81, v[10:11], v[12:13] offset0:200 offset1:250
	;; [unrolled: 1-line block ×4, first 2 shown]
	s_waitcnt lgkmcnt(0)
	s_barrier
	ds_read2_b64 v[2:5], v78 offset0:4 offset1:254
	ds_read2_b64 v[6:9], v75 offset1:250
	ds_read2_b64 v[10:13], v77 offset1:250
	ds_read2_b64 v[14:17], v76 offset0:4 offset1:254
	ds_read2_b64 v[18:21], v74 offset1:250
	s_waitcnt lgkmcnt(4)
	v_mul_f32_e32 v22, v33, v3
	v_fmac_f32_e32 v22, v32, v2
	v_mul_f32_e32 v2, v33, v2
	v_fma_f32 v23, v32, v3, -v2
	s_waitcnt lgkmcnt(2)
	v_mul_f32_e32 v2, v35, v10
	v_mul_f32_e32 v24, v35, v11
	v_fma_f32 v25, v34, v11, -v2
	s_waitcnt lgkmcnt(1)
	v_mul_f32_e32 v26, v45, v15
	v_mul_f32_e32 v2, v45, v14
	v_fmac_f32_e32 v24, v34, v10
	v_fmac_f32_e32 v26, v44, v14
	v_fma_f32 v14, v44, v15, -v2
	s_waitcnt lgkmcnt(0)
	v_mul_f32_e32 v2, v47, v18
	v_mul_f32_e32 v11, v47, v19
	v_fma_f32 v15, v46, v19, -v2
	v_mul_f32_e32 v19, v37, v5
	v_add_f32_e32 v3, v24, v26
	v_fmac_f32_e32 v19, v36, v4
	v_mul_f32_e32 v2, v37, v4
	v_fma_f32 v4, -0.5, v3, v6
	v_fmac_f32_e32 v11, v46, v18
	v_fma_f32 v27, v36, v5, -v2
	v_mul_f32_e32 v28, v39, v13
	v_mul_f32_e32 v2, v39, v12
	v_sub_f32_e32 v3, v23, v15
	v_mov_b32_e32 v10, v4
	v_fmac_f32_e32 v28, v38, v12
	v_fma_f32 v29, v38, v13, -v2
	v_fmac_f32_e32 v10, 0xbf737871, v3
	v_sub_f32_e32 v5, v25, v14
	v_sub_f32_e32 v12, v22, v24
	;; [unrolled: 1-line block ×3, first 2 shown]
	v_fmac_f32_e32 v4, 0x3f737871, v3
	v_mul_f32_e32 v2, v41, v16
	v_fmac_f32_e32 v10, 0xbf167918, v5
	v_add_f32_e32 v12, v12, v13
	v_fmac_f32_e32 v4, 0x3f167918, v5
	v_fma_f32 v31, v40, v17, -v2
	v_mul_f32_e32 v2, v43, v20
	v_fmac_f32_e32 v10, 0x3e9e377a, v12
	v_fmac_f32_e32 v4, 0x3e9e377a, v12
	v_add_f32_e32 v12, v22, v11
	v_fma_f32 v33, v42, v21, -v2
	v_add_f32_e32 v2, v6, v22
	v_fma_f32 v6, -0.5, v12, v6
	v_mov_b32_e32 v12, v6
	v_mul_f32_e32 v30, v41, v17
	v_add_f32_e32 v2, v2, v24
	v_fmac_f32_e32 v12, 0x3f737871, v5
	v_fmac_f32_e32 v6, 0xbf737871, v5
	v_add_f32_e32 v5, v25, v14
	v_fmac_f32_e32 v30, v40, v16
	v_add_f32_e32 v2, v2, v26
	v_sub_f32_e32 v13, v24, v22
	v_sub_f32_e32 v16, v26, v11
	v_fma_f32 v5, -0.5, v5, v7
	v_add_f32_e32 v2, v2, v11
	v_fmac_f32_e32 v12, 0xbf167918, v3
	v_add_f32_e32 v13, v13, v16
	v_fmac_f32_e32 v6, 0x3f167918, v3
	v_sub_f32_e32 v16, v22, v11
	v_mov_b32_e32 v11, v5
	v_fmac_f32_e32 v12, 0x3e9e377a, v13
	v_fmac_f32_e32 v6, 0x3e9e377a, v13
	;; [unrolled: 1-line block ×3, first 2 shown]
	v_sub_f32_e32 v17, v24, v26
	v_sub_f32_e32 v13, v23, v25
	;; [unrolled: 1-line block ×3, first 2 shown]
	v_fmac_f32_e32 v5, 0xbf737871, v16
	v_fmac_f32_e32 v11, 0x3f167918, v17
	v_add_f32_e32 v13, v13, v18
	v_fmac_f32_e32 v5, 0xbf167918, v17
	v_add_f32_e32 v3, v7, v23
	v_fmac_f32_e32 v11, 0x3e9e377a, v13
	v_fmac_f32_e32 v5, 0x3e9e377a, v13
	v_add_f32_e32 v13, v23, v15
	v_add_f32_e32 v3, v3, v25
	v_fma_f32 v7, -0.5, v13, v7
	v_add_f32_e32 v3, v3, v14
	v_mov_b32_e32 v13, v7
	v_add_f32_e32 v3, v3, v15
	v_fmac_f32_e32 v13, 0xbf737871, v17
	v_sub_f32_e32 v14, v14, v15
	v_fmac_f32_e32 v7, 0x3f737871, v17
	v_add_f32_e32 v15, v28, v30
	v_mul_f32_e32 v32, v43, v21
	v_fmac_f32_e32 v13, 0x3f167918, v16
	v_sub_f32_e32 v18, v25, v23
	v_fmac_f32_e32 v7, 0xbf167918, v16
	v_fma_f32 v16, -0.5, v15, v8
	v_fmac_f32_e32 v32, v42, v20
	v_add_f32_e32 v14, v18, v14
	v_sub_f32_e32 v15, v27, v33
	v_mov_b32_e32 v18, v16
	v_fmac_f32_e32 v18, 0xbf737871, v15
	v_sub_f32_e32 v17, v29, v31
	v_sub_f32_e32 v20, v19, v28
	;; [unrolled: 1-line block ×3, first 2 shown]
	v_fmac_f32_e32 v16, 0x3f737871, v15
	v_fmac_f32_e32 v18, 0xbf167918, v17
	v_add_f32_e32 v20, v20, v21
	v_fmac_f32_e32 v16, 0x3f167918, v17
	v_fmac_f32_e32 v18, 0x3e9e377a, v20
	;; [unrolled: 1-line block ×3, first 2 shown]
	v_add_f32_e32 v20, v19, v32
	v_fmac_f32_e32 v13, 0x3e9e377a, v14
	v_fmac_f32_e32 v7, 0x3e9e377a, v14
	v_add_f32_e32 v14, v8, v19
	v_fma_f32 v8, -0.5, v20, v8
	v_mov_b32_e32 v20, v8
	v_fmac_f32_e32 v20, 0x3f737871, v17
	v_fmac_f32_e32 v8, 0xbf737871, v17
	v_add_f32_e32 v17, v29, v31
	v_sub_f32_e32 v21, v28, v19
	v_sub_f32_e32 v22, v30, v32
	v_fma_f32 v17, -0.5, v17, v9
	v_fmac_f32_e32 v20, 0xbf167918, v15
	v_add_f32_e32 v21, v21, v22
	v_fmac_f32_e32 v8, 0x3f167918, v15
	v_sub_f32_e32 v22, v19, v32
	v_mov_b32_e32 v19, v17
	v_fmac_f32_e32 v20, 0x3e9e377a, v21
	v_fmac_f32_e32 v8, 0x3e9e377a, v21
	v_fmac_f32_e32 v19, 0x3f737871, v22
	v_sub_f32_e32 v23, v28, v30
	v_sub_f32_e32 v21, v27, v29
	;; [unrolled: 1-line block ×3, first 2 shown]
	v_fmac_f32_e32 v17, 0xbf737871, v22
	v_fmac_f32_e32 v19, 0x3f167918, v23
	v_add_f32_e32 v21, v21, v24
	v_fmac_f32_e32 v17, 0xbf167918, v23
	v_fmac_f32_e32 v19, 0x3e9e377a, v21
	;; [unrolled: 1-line block ×3, first 2 shown]
	v_add_f32_e32 v21, v27, v33
	v_add_f32_e32 v15, v9, v27
	v_fmac_f32_e32 v9, -0.5, v21
	v_mov_b32_e32 v21, v9
	v_add_f32_e32 v14, v14, v28
	v_add_f32_e32 v15, v15, v29
	v_fmac_f32_e32 v21, 0xbf737871, v23
	v_sub_f32_e32 v24, v29, v27
	v_sub_f32_e32 v25, v31, v33
	v_fmac_f32_e32 v9, 0x3f737871, v23
	v_add_f32_e32 v14, v14, v30
	v_add_f32_e32 v15, v15, v31
	v_fmac_f32_e32 v21, 0x3f167918, v22
	v_add_f32_e32 v24, v24, v25
	v_fmac_f32_e32 v9, 0xbf167918, v22
	v_add_f32_e32 v14, v14, v32
	v_add_f32_e32 v15, v15, v33
	v_fmac_f32_e32 v21, 0x3e9e377a, v24
	v_fmac_f32_e32 v9, 0x3e9e377a, v24
	ds_write_b64 v75, v[10:11] offset:4000
	ds_write_b64 v75, v[12:13] offset:8000
	;; [unrolled: 1-line block ×4, first 2 shown]
	ds_write2_b64 v75, v[2:3], v[14:15] offset1:250
	ds_write_b64 v75, v[18:19] offset:6000
	ds_write_b64 v75, v[20:21] offset:10000
	ds_write_b64 v75, v[8:9] offset:14000
	ds_write_b64 v75, v[16:17] offset:18000
	s_waitcnt lgkmcnt(0)
	s_barrier
	ds_read2_b64 v[2:5], v75 offset1:250
	s_mov_b32 s4, 0xeb1c432d
	s_mov_b32 s5, 0x3f3a36e2
	v_mad_u64_u32 v[8:9], s[8:9], s0, v73, 0
	s_waitcnt lgkmcnt(0)
	v_mul_f32_e32 v6, v68, v3
	v_fmac_f32_e32 v6, v67, v2
	v_mul_f32_e32 v2, v68, v2
	v_fma_f32 v2, v67, v3, -v2
	v_cvt_f64_f32_e32 v[2:3], v2
	v_cvt_f64_f32_e32 v[6:7], v6
	v_mul_f64 v[2:3], v[2:3], s[4:5]
	v_mul_f64 v[6:7], v[6:7], s[4:5]
	v_mad_u64_u32 v[10:11], s[2:3], s3, v50, v[1:2]
	v_mov_b32_e32 v1, v9
	v_mad_u64_u32 v[11:12], s[2:3], s1, v73, v[1:2]
	v_cvt_f32_f64_e32 v6, v[6:7]
	v_cvt_f32_f64_e32 v7, v[2:3]
	v_mul_f32_e32 v2, v66, v5
	v_fmac_f32_e32 v2, v65, v4
	v_mul_f32_e32 v4, v66, v4
	v_fma_f32 v4, v65, v5, -v4
	v_mov_b32_e32 v1, v10
	v_cvt_f64_f32_e32 v[4:5], v4
	v_lshlrev_b64 v[0:1], 3, v[0:1]
	v_mov_b32_e32 v9, v11
	v_mov_b32_e32 v10, s7
	v_cvt_f64_f32_e32 v[2:3], v2
	v_add_co_u32_e32 v11, vcc, s6, v0
	v_addc_co_u32_e32 v12, vcc, v10, v1, vcc
	v_lshlrev_b64 v[0:1], 3, v[8:9]
	v_mul_f64 v[4:5], v[4:5], s[4:5]
	v_add_co_u32_e32 v10, vcc, v11, v0
	v_mul_f64 v[8:9], v[2:3], s[4:5]
	v_addc_co_u32_e32 v11, vcc, v12, v1, vcc
	ds_read2_b64 v[0:3], v78 offset0:4 offset1:254
	global_store_dwordx2 v[10:11], v[6:7], off
	v_cvt_f32_f64_e32 v7, v[4:5]
	s_mulk_i32 s1, 0x7d0
	s_mul_hi_u32 s2, s0, 0x7d0
	s_waitcnt lgkmcnt(0)
	v_mul_f32_e32 v4, v60, v1
	v_fmac_f32_e32 v4, v59, v0
	v_cvt_f64_f32_e32 v[4:5], v4
	v_mul_f32_e32 v0, v60, v0
	v_fma_f32 v0, v59, v1, -v0
	v_cvt_f64_f32_e32 v[0:1], v0
	v_mul_f64 v[4:5], v[4:5], s[4:5]
	v_cvt_f32_f64_e32 v6, v[8:9]
	s_add_i32 s1, s2, s1
	v_mul_f64 v[0:1], v[0:1], s[4:5]
	s_mulk_i32 s0, 0x7d0
	v_mov_b32_e32 v9, s1
	v_add_co_u32_e32 v8, vcc, s0, v10
	v_cvt_f32_f64_e32 v4, v[4:5]
	v_mul_f32_e32 v5, v64, v3
	v_fmac_f32_e32 v5, v63, v2
	v_mul_f32_e32 v2, v64, v2
	v_fma_f32 v2, v63, v3, -v2
	v_cvt_f64_f32_e32 v[2:3], v2
	v_addc_co_u32_e32 v9, vcc, v11, v9, vcc
	global_store_dwordx2 v[8:9], v[6:7], off
	v_cvt_f64_f32_e32 v[6:7], v5
	v_cvt_f32_f64_e32 v5, v[0:1]
	v_mul_f64 v[10:11], v[2:3], s[4:5]
	ds_read2_b64 v[0:3], v77 offset1:250
	v_mov_b32_e32 v12, s1
	v_add_co_u32_e32 v8, vcc, s0, v8
	v_addc_co_u32_e32 v9, vcc, v9, v12, vcc
	global_store_dwordx2 v[8:9], v[4:5], off
	s_waitcnt lgkmcnt(0)
	v_mul_f32_e32 v4, v56, v1
	v_fmac_f32_e32 v4, v55, v0
	v_cvt_f64_f32_e32 v[4:5], v4
	v_mul_f32_e32 v0, v56, v0
	v_fma_f32 v0, v55, v1, -v0
	v_mul_f64 v[6:7], v[6:7], s[4:5]
	v_mul_f64 v[4:5], v[4:5], s[4:5]
	v_cvt_f64_f32_e32 v[0:1], v0
	v_add_co_u32_e32 v8, vcc, s0, v8
	v_mul_f64 v[0:1], v[0:1], s[4:5]
	v_cvt_f32_f64_e32 v6, v[6:7]
	v_cvt_f32_f64_e32 v4, v[4:5]
	v_mul_f32_e32 v5, v62, v3
	v_fmac_f32_e32 v5, v61, v2
	v_mul_f32_e32 v2, v62, v2
	v_fma_f32 v2, v61, v3, -v2
	v_cvt_f32_f64_e32 v7, v[10:11]
	v_cvt_f64_f32_e32 v[2:3], v2
	v_mov_b32_e32 v10, s1
	v_addc_co_u32_e32 v9, vcc, v9, v10, vcc
	global_store_dwordx2 v[8:9], v[6:7], off
	v_cvt_f64_f32_e32 v[6:7], v5
	v_cvt_f32_f64_e32 v5, v[0:1]
	v_mul_f64 v[10:11], v[2:3], s[4:5]
	ds_read2_b64 v[0:3], v76 offset0:4 offset1:254
	v_add_co_u32_e32 v8, vcc, s0, v8
	v_addc_co_u32_e32 v9, vcc, v9, v12, vcc
	global_store_dwordx2 v[8:9], v[4:5], off
	s_waitcnt lgkmcnt(0)
	v_mul_f32_e32 v4, v54, v1
	v_fmac_f32_e32 v4, v53, v0
	v_cvt_f64_f32_e32 v[4:5], v4
	v_mul_f64 v[6:7], v[6:7], s[4:5]
	v_mul_f32_e32 v0, v54, v0
	v_fma_f32 v0, v53, v1, -v0
	v_mul_f64 v[4:5], v[4:5], s[4:5]
	v_cvt_f64_f32_e32 v[0:1], v0
	v_add_co_u32_e32 v8, vcc, s0, v8
	v_cvt_f32_f64_e32 v6, v[6:7]
	v_cvt_f32_f64_e32 v7, v[10:11]
	v_mov_b32_e32 v10, s1
	v_mul_f64 v[0:1], v[0:1], s[4:5]
	v_cvt_f32_f64_e32 v4, v[4:5]
	v_mul_f32_e32 v5, v58, v3
	v_addc_co_u32_e32 v9, vcc, v9, v10, vcc
	v_fmac_f32_e32 v5, v57, v2
	global_store_dwordx2 v[8:9], v[6:7], off
	v_cvt_f64_f32_e32 v[6:7], v5
	v_mul_f32_e32 v2, v58, v2
	v_fma_f32 v2, v57, v3, -v2
	v_cvt_f64_f32_e32 v[2:3], v2
	v_mul_f64 v[6:7], v[6:7], s[4:5]
	v_cvt_f32_f64_e32 v5, v[0:1]
	v_mov_b32_e32 v0, s1
	v_add_co_u32_e32 v8, vcc, s0, v8
	v_mul_f64 v[10:11], v[2:3], s[4:5]
	v_addc_co_u32_e32 v9, vcc, v9, v0, vcc
	ds_read2_b64 v[0:3], v74 offset1:250
	global_store_dwordx2 v[8:9], v[4:5], off
	v_cvt_f32_f64_e32 v4, v[6:7]
	v_add_co_u32_e32 v8, vcc, s0, v8
	s_waitcnt lgkmcnt(0)
	v_mul_f32_e32 v6, v52, v1
	v_fmac_f32_e32 v6, v51, v0
	v_mul_f32_e32 v0, v52, v0
	v_fma_f32 v0, v51, v1, -v0
	v_cvt_f32_f64_e32 v5, v[10:11]
	v_cvt_f64_f32_e32 v[6:7], v6
	v_cvt_f64_f32_e32 v[0:1], v0
	v_mov_b32_e32 v10, s1
	v_addc_co_u32_e32 v9, vcc, v9, v10, vcc
	global_store_dwordx2 v[8:9], v[4:5], off
	v_mul_f64 v[4:5], v[6:7], s[4:5]
	v_mul_f64 v[0:1], v[0:1], s[4:5]
	v_mul_f32_e32 v6, v49, v3
	v_fmac_f32_e32 v6, v48, v2
	v_mul_f32_e32 v2, v49, v2
	v_fma_f32 v2, v48, v3, -v2
	v_cvt_f64_f32_e32 v[6:7], v6
	v_cvt_f64_f32_e32 v[2:3], v2
	v_cvt_f32_f64_e32 v4, v[4:5]
	v_cvt_f32_f64_e32 v5, v[0:1]
	v_mul_f64 v[0:1], v[6:7], s[4:5]
	v_mul_f64 v[2:3], v[2:3], s[4:5]
	v_mov_b32_e32 v7, s1
	v_add_co_u32_e32 v6, vcc, s0, v8
	v_addc_co_u32_e32 v7, vcc, v9, v7, vcc
	global_store_dwordx2 v[6:7], v[4:5], off
	v_cvt_f32_f64_e32 v0, v[0:1]
	v_cvt_f32_f64_e32 v1, v[2:3]
	v_mov_b32_e32 v3, s1
	v_add_co_u32_e32 v2, vcc, s0, v6
	v_addc_co_u32_e32 v3, vcc, v7, v3, vcc
	global_store_dwordx2 v[2:3], v[0:1], off
.LBB0_2:
	s_endpgm
	.section	.rodata,"a",@progbits
	.p2align	6, 0x0
	.amdhsa_kernel bluestein_single_back_len2500_dim1_sp_op_CI_CI
		.amdhsa_group_segment_fixed_size 20000
		.amdhsa_private_segment_fixed_size 0
		.amdhsa_kernarg_size 104
		.amdhsa_user_sgpr_count 6
		.amdhsa_user_sgpr_private_segment_buffer 1
		.amdhsa_user_sgpr_dispatch_ptr 0
		.amdhsa_user_sgpr_queue_ptr 0
		.amdhsa_user_sgpr_kernarg_segment_ptr 1
		.amdhsa_user_sgpr_dispatch_id 0
		.amdhsa_user_sgpr_flat_scratch_init 0
		.amdhsa_user_sgpr_private_segment_size 0
		.amdhsa_uses_dynamic_stack 0
		.amdhsa_system_sgpr_private_segment_wavefront_offset 0
		.amdhsa_system_sgpr_workgroup_id_x 1
		.amdhsa_system_sgpr_workgroup_id_y 0
		.amdhsa_system_sgpr_workgroup_id_z 0
		.amdhsa_system_sgpr_workgroup_info 0
		.amdhsa_system_vgpr_workitem_id 0
		.amdhsa_next_free_vgpr 126
		.amdhsa_next_free_sgpr 20
		.amdhsa_reserve_vcc 1
		.amdhsa_reserve_flat_scratch 0
		.amdhsa_float_round_mode_32 0
		.amdhsa_float_round_mode_16_64 0
		.amdhsa_float_denorm_mode_32 3
		.amdhsa_float_denorm_mode_16_64 3
		.amdhsa_dx10_clamp 1
		.amdhsa_ieee_mode 1
		.amdhsa_fp16_overflow 0
		.amdhsa_exception_fp_ieee_invalid_op 0
		.amdhsa_exception_fp_denorm_src 0
		.amdhsa_exception_fp_ieee_div_zero 0
		.amdhsa_exception_fp_ieee_overflow 0
		.amdhsa_exception_fp_ieee_underflow 0
		.amdhsa_exception_fp_ieee_inexact 0
		.amdhsa_exception_int_div_zero 0
	.end_amdhsa_kernel
	.text
.Lfunc_end0:
	.size	bluestein_single_back_len2500_dim1_sp_op_CI_CI, .Lfunc_end0-bluestein_single_back_len2500_dim1_sp_op_CI_CI
                                        ; -- End function
	.section	.AMDGPU.csdata,"",@progbits
; Kernel info:
; codeLenInByte = 10880
; NumSgprs: 24
; NumVgprs: 126
; ScratchSize: 0
; MemoryBound: 0
; FloatMode: 240
; IeeeMode: 1
; LDSByteSize: 20000 bytes/workgroup (compile time only)
; SGPRBlocks: 2
; VGPRBlocks: 31
; NumSGPRsForWavesPerEU: 24
; NumVGPRsForWavesPerEU: 126
; Occupancy: 2
; WaveLimiterHint : 1
; COMPUTE_PGM_RSRC2:SCRATCH_EN: 0
; COMPUTE_PGM_RSRC2:USER_SGPR: 6
; COMPUTE_PGM_RSRC2:TRAP_HANDLER: 0
; COMPUTE_PGM_RSRC2:TGID_X_EN: 1
; COMPUTE_PGM_RSRC2:TGID_Y_EN: 0
; COMPUTE_PGM_RSRC2:TGID_Z_EN: 0
; COMPUTE_PGM_RSRC2:TIDIG_COMP_CNT: 0
	.type	__hip_cuid_b214a4b41634c6ec,@object ; @__hip_cuid_b214a4b41634c6ec
	.section	.bss,"aw",@nobits
	.globl	__hip_cuid_b214a4b41634c6ec
__hip_cuid_b214a4b41634c6ec:
	.byte	0                               ; 0x0
	.size	__hip_cuid_b214a4b41634c6ec, 1

	.ident	"AMD clang version 19.0.0git (https://github.com/RadeonOpenCompute/llvm-project roc-6.4.0 25133 c7fe45cf4b819c5991fe208aaa96edf142730f1d)"
	.section	".note.GNU-stack","",@progbits
	.addrsig
	.addrsig_sym __hip_cuid_b214a4b41634c6ec
	.amdgpu_metadata
---
amdhsa.kernels:
  - .args:
      - .actual_access:  read_only
        .address_space:  global
        .offset:         0
        .size:           8
        .value_kind:     global_buffer
      - .actual_access:  read_only
        .address_space:  global
        .offset:         8
        .size:           8
        .value_kind:     global_buffer
      - .actual_access:  read_only
        .address_space:  global
        .offset:         16
        .size:           8
        .value_kind:     global_buffer
      - .actual_access:  read_only
        .address_space:  global
        .offset:         24
        .size:           8
        .value_kind:     global_buffer
      - .actual_access:  read_only
        .address_space:  global
        .offset:         32
        .size:           8
        .value_kind:     global_buffer
      - .offset:         40
        .size:           8
        .value_kind:     by_value
      - .address_space:  global
        .offset:         48
        .size:           8
        .value_kind:     global_buffer
      - .address_space:  global
        .offset:         56
        .size:           8
        .value_kind:     global_buffer
      - .address_space:  global
        .offset:         64
        .size:           8
        .value_kind:     global_buffer
      - .address_space:  global
        .offset:         72
        .size:           8
        .value_kind:     global_buffer
      - .offset:         80
        .size:           4
        .value_kind:     by_value
      - .address_space:  global
        .offset:         88
        .size:           8
        .value_kind:     global_buffer
      - .address_space:  global
        .offset:         96
        .size:           8
        .value_kind:     global_buffer
    .group_segment_fixed_size: 20000
    .kernarg_segment_align: 8
    .kernarg_segment_size: 104
    .language:       OpenCL C
    .language_version:
      - 2
      - 0
    .max_flat_workgroup_size: 250
    .name:           bluestein_single_back_len2500_dim1_sp_op_CI_CI
    .private_segment_fixed_size: 0
    .sgpr_count:     24
    .sgpr_spill_count: 0
    .symbol:         bluestein_single_back_len2500_dim1_sp_op_CI_CI.kd
    .uniform_work_group_size: 1
    .uses_dynamic_stack: false
    .vgpr_count:     126
    .vgpr_spill_count: 0
    .wavefront_size: 64
amdhsa.target:   amdgcn-amd-amdhsa--gfx906
amdhsa.version:
  - 1
  - 2
...

	.end_amdgpu_metadata
